;; amdgpu-corpus repo=ROCm/rocFFT kind=compiled arch=gfx906 opt=O3
	.text
	.amdgcn_target "amdgcn-amd-amdhsa--gfx906"
	.amdhsa_code_object_version 6
	.protected	bluestein_single_back_len1694_dim1_dp_op_CI_CI ; -- Begin function bluestein_single_back_len1694_dim1_dp_op_CI_CI
	.globl	bluestein_single_back_len1694_dim1_dp_op_CI_CI
	.p2align	8
	.type	bluestein_single_back_len1694_dim1_dp_op_CI_CI,@function
bluestein_single_back_len1694_dim1_dp_op_CI_CI: ; @bluestein_single_back_len1694_dim1_dp_op_CI_CI
; %bb.0:
	s_load_dwordx4 s[16:19], s[4:5], 0x28
	s_mov_b64 s[46:47], s[2:3]
	v_mul_u32_u24_e32 v1, 0x1aa, v0
	s_mov_b64 s[44:45], s[0:1]
	v_add_u32_sdwa v4, s6, v1 dst_sel:DWORD dst_unused:UNUSED_PAD src0_sel:DWORD src1_sel:WORD_1
	v_mov_b32_e32 v5, 0
	s_add_u32 s44, s44, s7
	s_waitcnt lgkmcnt(0)
	v_cmp_gt_u64_e32 vcc, s[16:17], v[4:5]
	s_addc_u32 s45, s45, 0
	s_and_saveexec_b64 s[0:1], vcc
	s_cbranch_execz .LBB0_18
; %bb.1:
	s_load_dwordx4 s[0:3], s[4:5], 0x18
	s_load_dwordx4 s[12:15], s[4:5], 0x0
	v_mov_b32_e32 v5, v4
	s_mov_b32 s24, 0xf8bb580b
	s_mov_b32 s16, 0xd9c712b6
	s_waitcnt lgkmcnt(0)
	s_load_dwordx4 s[8:11], s[0:1], 0x0
	s_movk_i32 s0, 0x9a
	v_mul_lo_u16_sdwa v1, v1, s0 dst_sel:DWORD dst_unused:UNUSED_PAD src0_sel:WORD_1 src1_sel:DWORD
	v_sub_u16_e32 v214, v0, v1
	buffer_store_dword v5, off, s[44:47], 0 ; 4-byte Folded Spill
	s_nop 0
	buffer_store_dword v6, off, s[44:47], 0 offset:4 ; 4-byte Folded Spill
	s_waitcnt lgkmcnt(0)
	v_mad_u64_u32 v[0:1], s[0:1], s10, v4, 0
	v_mad_u64_u32 v[2:3], s[0:1], s8, v214, 0
	v_lshlrev_b32_e32 v213, 4, v214
	v_add_co_u32_e64 v209, s[6:7], s12, v213
	v_mad_u64_u32 v[4:5], s[0:1], s11, v4, v[1:2]
	s_mov_b32 s22, 0xbb3a28a1
	s_mov_b32 s30, 0xfd768dbf
	v_mad_u64_u32 v[5:6], s[0:1], s9, v214, v[3:4]
	v_mov_b32_e32 v1, v4
	v_lshlrev_b64 v[0:1], 4, v[0:1]
	v_mov_b32_e32 v6, s19
	v_mov_b32_e32 v3, v5
	v_add_co_u32_e32 v4, vcc, s18, v0
	v_addc_co_u32_e32 v5, vcc, v6, v1, vcc
	v_lshlrev_b64 v[0:1], 4, v[2:3]
	v_mov_b32_e32 v2, s13
	v_add_co_u32_e32 v0, vcc, v4, v0
	s_mul_i32 s0, s9, 0x9a0
	s_mul_hi_u32 s1, s8, 0x9a0
	v_addc_co_u32_e32 v1, vcc, v5, v1, vcc
	v_addc_co_u32_e64 v30, vcc, 0, v2, s[6:7]
	s_add_i32 s0, s1, s0
	s_mul_i32 s1, s8, 0x9a0
	v_mov_b32_e32 v3, s0
	v_add_co_u32_e32 v2, vcc, s1, v0
	v_addc_co_u32_e32 v3, vcc, v1, v3, vcc
	global_load_dwordx4 v[44:47], v[0:1], off
	global_load_dwordx4 v[48:51], v[2:3], off
	global_load_dwordx4 v[32:35], v213, s[12:13]
	global_load_dwordx4 v[20:23], v213, s[12:13] offset:2464
	v_mov_b32_e32 v1, s0
	v_add_co_u32_e32 v0, vcc, s1, v2
	v_addc_co_u32_e32 v1, vcc, v3, v1, vcc
	s_movk_i32 s8, 0x1000
	v_add_co_u32_e32 v2, vcc, s8, v209
	v_addc_co_u32_e32 v3, vcc, 0, v30, vcc
	global_load_dwordx4 v[52:55], v[0:1], off
	v_mov_b32_e32 v4, s0
	v_add_co_u32_e32 v0, vcc, s1, v0
	v_addc_co_u32_e32 v1, vcc, v1, v4, vcc
	global_load_dwordx4 v[24:27], v[2:3], off offset:832
	global_load_dwordx4 v[4:7], v[2:3], off offset:3296
	v_mov_b32_e32 v3, s0
	v_add_co_u32_e32 v2, vcc, s1, v0
	v_addc_co_u32_e32 v3, vcc, v1, v3, vcc
	s_movk_i32 s8, 0x2000
	global_load_dwordx4 v[56:59], v[0:1], off
	global_load_dwordx4 v[60:63], v[2:3], off
	v_add_co_u32_e32 v0, vcc, s8, v209
	v_addc_co_u32_e32 v1, vcc, 0, v30, vcc
	global_load_dwordx4 v[8:11], v[0:1], off offset:1664
	v_mov_b32_e32 v1, s0
	v_add_co_u32_e32 v0, vcc, s1, v2
	v_addc_co_u32_e32 v1, vcc, v3, v1, vcc
	s_movk_i32 s8, 0x3000
	v_add_co_u32_e32 v2, vcc, s8, v209
	v_addc_co_u32_e32 v3, vcc, 0, v30, vcc
	global_load_dwordx4 v[64:67], v[0:1], off
	v_mov_b32_e32 v12, s0
	v_add_co_u32_e32 v0, vcc, s1, v0
	v_addc_co_u32_e32 v1, vcc, v1, v12, vcc
	global_load_dwordx4 v[68:71], v[0:1], off
	global_load_dwordx4 v[36:39], v[2:3], off offset:32
	global_load_dwordx4 v[12:15], v[2:3], off offset:2496
	v_mov_b32_e32 v2, s0
	v_add_co_u32_e32 v0, vcc, s1, v0
	v_addc_co_u32_e32 v1, vcc, v1, v2, vcc
	s_movk_i32 s8, 0x4000
	v_add_co_u32_e32 v2, vcc, s8, v209
	v_addc_co_u32_e32 v3, vcc, 0, v30, vcc
	global_load_dwordx4 v[72:75], v[0:1], off
	v_mov_b32_e32 v16, s0
	v_add_co_u32_e32 v0, vcc, s1, v0
	v_addc_co_u32_e32 v1, vcc, v1, v16, vcc
	global_load_dwordx4 v[76:79], v[0:1], off
	global_load_dwordx4 v[40:43], v[2:3], off offset:864
	global_load_dwordx4 v[16:19], v[2:3], off offset:3328
	v_mov_b32_e32 v2, s0
	v_add_co_u32_e32 v28, vcc, s1, v0
	v_addc_co_u32_e32 v29, vcc, v1, v2, vcc
	s_movk_i32 s8, 0x5000
	v_add_co_u32_e32 v0, vcc, s8, v209
	v_addc_co_u32_e32 v1, vcc, 0, v30, vcc
	global_load_dwordx4 v[80:83], v[28:29], off
	global_load_dwordx4 v[100:103], v[0:1], off offset:1696
	v_mov_b32_e32 v0, s0
	v_add_co_u32_e32 v28, vcc, s1, v28
	s_waitcnt vmcnt(17)
	v_mul_f64 v[88:89], v[46:47], v[34:35]
	v_mul_f64 v[90:91], v[44:45], v[34:35]
	s_waitcnt vmcnt(16)
	v_mul_f64 v[92:93], v[50:51], v[22:23]
	v_mul_f64 v[94:95], v[48:49], v[22:23]
	v_addc_co_u32_e32 v29, vcc, v29, v0, vcc
	s_movk_i32 s0, 0x6000
	global_load_dwordx4 v[84:87], v[28:29], off
	v_fma_f64 v[44:45], v[44:45], v[32:33], v[88:89]
	v_fma_f64 v[46:47], v[46:47], v[32:33], -v[90:91]
	v_fma_f64 v[48:49], v[48:49], v[20:21], v[92:93]
	v_fma_f64 v[50:51], v[50:51], v[20:21], -v[94:95]
	v_add_co_u32_e32 v28, vcc, s0, v209
	v_addc_co_u32_e32 v29, vcc, 0, v30, vcc
	global_load_dwordx4 v[28:31], v[28:29], off offset:64
	s_waitcnt vmcnt(16)
	v_mul_f64 v[96:97], v[54:55], v[26:27]
	v_mul_f64 v[98:99], v[52:53], v[26:27]
	s_load_dwordx4 s[8:11], s[2:3], 0x0
	s_mov_b32 s3, 0xbfed1bb4
	s_mov_b32 s2, 0x8eee2c13
	;; [unrolled: 1-line block ×5, first 2 shown]
	v_fma_f64 v[52:53], v[52:53], v[24:25], v[96:97]
	v_fma_f64 v[54:55], v[54:55], v[24:25], -v[98:99]
	ds_write_b128 v213, v[44:47]
	ds_write_b128 v213, v[48:51] offset:2464
	ds_write_b128 v213, v[52:55] offset:4928
	s_waitcnt vmcnt(14)
	v_mul_f64 v[44:45], v[58:59], v[6:7]
	v_mul_f64 v[46:47], v[56:57], v[6:7]
	s_waitcnt vmcnt(12)
	v_mul_f64 v[48:49], v[62:63], v[10:11]
	v_mul_f64 v[50:51], v[60:61], v[10:11]
	s_mov_b32 s17, 0x3fda9628
	s_mov_b32 s23, 0xbfe82f19
	;; [unrolled: 1-line block ×4, first 2 shown]
	v_fma_f64 v[44:45], v[56:57], v[4:5], v[44:45]
	v_fma_f64 v[46:47], v[58:59], v[4:5], -v[46:47]
	v_fma_f64 v[48:49], v[60:61], v[8:9], v[48:49]
	v_fma_f64 v[50:51], v[62:63], v[8:9], -v[50:51]
	s_mov_b32 s0, 0x640f44db
	s_waitcnt vmcnt(9)
	v_mul_f64 v[52:53], v[66:67], v[38:39]
	s_waitcnt vmcnt(8)
	v_mul_f64 v[88:89], v[70:71], v[14:15]
	v_mul_f64 v[90:91], v[68:69], v[14:15]
	;; [unrolled: 1-line block ×3, first 2 shown]
	s_mov_b32 s26, 0x7f775887
	s_mov_b32 s28, 0x9bcd5057
	;; [unrolled: 1-line block ×4, first 2 shown]
	v_fma_f64 v[52:53], v[64:65], v[36:37], v[52:53]
	v_fma_f64 v[56:57], v[68:69], v[12:13], v[88:89]
	v_fma_f64 v[58:59], v[70:71], v[12:13], -v[90:91]
	v_fma_f64 v[54:55], v[66:67], v[36:37], -v[54:55]
	s_mov_b32 s27, 0xbfe4f49e
	s_mov_b32 s29, 0xbfeeb42a
	;; [unrolled: 1-line block ×5, first 2 shown]
	s_waitcnt vmcnt(5)
	v_mul_f64 v[60:61], v[74:75], v[42:43]
	v_mul_f64 v[62:63], v[72:73], v[42:43]
	s_waitcnt vmcnt(4)
	v_mul_f64 v[64:65], v[78:79], v[18:19]
	v_mul_f64 v[66:67], v[76:77], v[18:19]
	s_mov_b32 s36, s18
	s_mov_b32 s35, 0x3fe14ced
	;; [unrolled: 1-line block ×3, first 2 shown]
	v_mul_lo_u16_e32 v0, 11, v214
	v_fma_f64 v[60:61], v[72:73], v[40:41], v[60:61]
	v_fma_f64 v[62:63], v[74:75], v[40:41], -v[62:63]
	v_fma_f64 v[64:65], v[76:77], v[16:17], v[64:65]
	v_fma_f64 v[66:67], v[78:79], v[16:17], -v[66:67]
	v_lshlrev_b32_e32 v208, 4, v0
	s_waitcnt vmcnt(2)
	v_mul_f64 v[68:69], v[82:83], v[102:103]
	v_mul_f64 v[70:71], v[80:81], v[102:103]
	s_load_dwordx2 s[4:5], s[4:5], 0x38
	v_fma_f64 v[68:69], v[80:81], v[100:101], v[68:69]
	buffer_store_dword v100, off, s[44:47], 0 offset:8 ; 4-byte Folded Spill
	s_nop 0
	buffer_store_dword v101, off, s[44:47], 0 offset:12 ; 4-byte Folded Spill
	buffer_store_dword v102, off, s[44:47], 0 offset:16 ; 4-byte Folded Spill
	;; [unrolled: 1-line block ×3, first 2 shown]
	s_waitcnt vmcnt(4)
	v_mul_f64 v[88:89], v[86:87], v[30:31]
	v_mul_f64 v[90:91], v[84:85], v[30:31]
	v_fma_f64 v[72:73], v[84:85], v[28:29], v[88:89]
	v_fma_f64 v[74:75], v[86:87], v[28:29], -v[90:91]
	v_fma_f64 v[70:71], v[82:83], v[100:101], -v[70:71]
	ds_write_b128 v213, v[44:47] offset:7392
	ds_write_b128 v213, v[48:51] offset:9856
	;; [unrolled: 1-line block ×8, first 2 shown]
	s_waitcnt vmcnt(0) lgkmcnt(0)
	s_barrier
	ds_read_b128 v[48:51], v213
	ds_read_b128 v[52:55], v213 offset:2464
	ds_read_b128 v[56:59], v213 offset:4928
	;; [unrolled: 1-line block ×10, first 2 shown]
	s_waitcnt lgkmcnt(9)
	v_add_f64 v[44:45], v[48:49], v[52:53]
	v_add_f64 v[46:47], v[50:51], v[54:55]
	s_waitcnt lgkmcnt(0)
	v_add_f64 v[94:95], v[54:55], -v[88:89]
	v_add_f64 v[96:97], v[52:53], v[86:87]
	v_add_f64 v[112:113], v[56:57], v[90:91]
	;; [unrolled: 1-line block ×3, first 2 shown]
	s_barrier
	v_add_f64 v[44:45], v[44:45], v[56:57]
	v_add_f64 v[46:47], v[46:47], v[58:59]
	v_mul_f64 v[60:61], v[94:95], s[24:25]
	v_mul_f64 v[104:105], v[94:95], s[18:19]
	;; [unrolled: 1-line block ×3, first 2 shown]
	v_add_f64 v[44:45], v[44:45], v[62:63]
	v_add_f64 v[46:47], v[46:47], v[64:65]
	v_fma_f64 v[98:99], v[96:97], s[20:21], -v[60:61]
	v_fma_f64 v[102:103], v[96:97], s[20:21], v[60:61]
	v_add_f64 v[60:61], v[64:65], v[84:85]
	v_add_f64 v[64:65], v[64:65], -v[84:85]
	v_add_f64 v[44:45], v[44:45], v[66:67]
	v_add_f64 v[46:47], v[46:47], v[68:69]
	v_add_f64 v[102:103], v[48:49], v[102:103]
	v_add_f64 v[44:45], v[44:45], v[70:71]
	v_add_f64 v[46:47], v[46:47], v[72:73]
	v_add_f64 v[44:45], v[44:45], v[74:75]
	v_add_f64 v[46:47], v[46:47], v[76:77]
	v_add_f64 v[44:45], v[44:45], v[78:79]
	v_add_f64 v[46:47], v[46:47], v[80:81]
	v_add_f64 v[44:45], v[44:45], v[82:83]
	v_add_f64 v[46:47], v[46:47], v[84:85]
	v_fma_f64 v[84:85], v[96:97], s[26:27], v[110:111]
	v_add_f64 v[44:45], v[44:45], v[90:91]
	v_add_f64 v[46:47], v[46:47], v[92:93]
	v_add_f64 v[90:91], v[56:57], -v[90:91]
	v_add_f64 v[56:57], v[66:67], -v[78:79]
	;; [unrolled: 1-line block ×3, first 2 shown]
	v_add_f64 v[58:59], v[62:63], v[82:83]
	v_add_f64 v[82:83], v[62:63], -v[82:83]
	v_add_f64 v[62:63], v[68:69], -v[80:81]
	v_add_f64 v[44:45], v[44:45], v[86:87]
	v_add_f64 v[86:87], v[52:53], -v[86:87]
	v_mul_f64 v[52:53], v[94:95], s[2:3]
	v_add_f64 v[46:47], v[46:47], v[88:89]
	v_add_f64 v[88:89], v[54:55], v[88:89]
	;; [unrolled: 1-line block ×3, first 2 shown]
	v_fma_f64 v[68:69], v[96:97], s[0:1], -v[104:105]
	v_fma_f64 v[80:81], v[96:97], s[26:27], -v[110:111]
	v_mul_f64 v[126:127], v[90:91], s[2:3]
	v_mul_f64 v[100:101], v[86:87], s[24:25]
	v_fma_f64 v[106:107], v[96:97], s[16:17], -v[52:53]
	v_fma_f64 v[108:109], v[96:97], s[16:17], v[52:53]
	v_add_f64 v[52:53], v[66:67], v[78:79]
	v_add_f64 v[78:79], v[70:71], -v[74:75]
	v_add_f64 v[74:75], v[70:71], v[74:75]
	v_mul_f64 v[70:71], v[94:95], s[30:31]
	v_mul_f64 v[94:95], v[86:87], s[2:3]
	v_add_f64 v[66:67], v[72:73], -v[76:77]
	v_add_f64 v[72:73], v[72:73], v[76:77]
	v_fma_f64 v[76:77], v[96:97], s[0:1], v[104:105]
	v_mul_f64 v[110:111], v[86:87], s[18:19]
	v_fma_f64 v[116:117], v[88:89], s[20:21], v[100:101]
	v_fma_f64 v[100:101], v[88:89], s[20:21], -v[100:101]
	v_fma_f64 v[104:105], v[96:97], s[28:29], -v[70:71]
	v_fma_f64 v[70:71], v[96:97], s[28:29], v[70:71]
	v_mul_f64 v[96:97], v[86:87], s[22:23]
	v_mul_f64 v[86:87], v[86:87], s[30:31]
	v_fma_f64 v[118:119], v[88:89], s[16:17], v[94:95]
	v_fma_f64 v[94:95], v[88:89], s[16:17], -v[94:95]
	v_fma_f64 v[120:121], v[88:89], s[0:1], v[110:111]
	v_fma_f64 v[110:111], v[88:89], s[0:1], -v[110:111]
	v_add_f64 v[100:101], v[50:51], v[100:101]
	v_add_f64 v[106:107], v[48:49], v[106:107]
	v_fma_f64 v[122:123], v[88:89], s[26:27], v[96:97]
	v_fma_f64 v[96:97], v[88:89], s[26:27], -v[96:97]
	v_fma_f64 v[124:125], v[88:89], s[28:29], v[86:87]
	v_fma_f64 v[86:87], v[88:89], s[28:29], -v[86:87]
	v_add_f64 v[88:89], v[48:49], v[98:99]
	v_add_f64 v[98:99], v[50:51], v[116:117]
	;; [unrolled: 1-line block ×3, first 2 shown]
	v_mul_f64 v[118:119], v[92:93], s[2:3]
	v_add_f64 v[108:109], v[48:49], v[108:109]
	v_add_f64 v[94:95], v[50:51], v[94:95]
	;; [unrolled: 1-line block ×7, first 2 shown]
	v_fma_f64 v[128:129], v[112:113], s[16:17], -v[118:119]
	v_add_f64 v[122:123], v[50:51], v[122:123]
	v_add_f64 v[84:85], v[48:49], v[84:85]
	;; [unrolled: 1-line block ×6, first 2 shown]
	v_fma_f64 v[70:71], v[114:115], s[16:17], v[126:127]
	v_add_f64 v[50:51], v[50:51], v[86:87]
	v_add_f64 v[86:87], v[128:129], v[88:89]
	v_mul_f64 v[88:89], v[92:93], s[22:23]
	v_mul_f64 v[128:129], v[90:91], s[22:23]
	;; [unrolled: 1-line block ×4, first 2 shown]
	s_mov_b32 s3, 0x3fed1bb4
	v_add_f64 v[70:71], v[70:71], v[98:99]
	v_fma_f64 v[98:99], v[112:113], s[16:17], v[118:119]
	v_fma_f64 v[118:119], v[114:115], s[16:17], -v[126:127]
	v_fma_f64 v[126:127], v[112:113], s[26:27], -v[88:89]
	v_fma_f64 v[132:133], v[114:115], s[26:27], v[128:129]
	v_fma_f64 v[88:89], v[112:113], s[26:27], v[88:89]
	v_fma_f64 v[128:129], v[114:115], s[26:27], -v[128:129]
	v_fma_f64 v[134:135], v[112:113], s[28:29], -v[130:131]
	v_add_f64 v[98:99], v[98:99], v[102:103]
	v_add_f64 v[100:101], v[118:119], v[100:101]
	v_add_f64 v[102:103], v[126:127], v[106:107]
	v_add_f64 v[106:107], v[132:133], v[116:117]
	v_add_f64 v[88:89], v[88:89], v[108:109]
	v_add_f64 v[94:95], v[128:129], v[94:95]
	v_fma_f64 v[108:109], v[114:115], s[28:29], v[136:137]
	v_fma_f64 v[116:117], v[112:113], s[28:29], v[130:131]
	v_fma_f64 v[118:119], v[114:115], s[28:29], -v[136:137]
	v_mul_f64 v[126:127], v[92:93], s[36:37]
	v_mul_f64 v[92:93], v[92:93], s[34:35]
	;; [unrolled: 1-line block ×4, first 2 shown]
	v_add_f64 v[68:69], v[134:135], v[68:69]
	v_add_f64 v[108:109], v[108:109], v[120:121]
	;; [unrolled: 1-line block ×4, first 2 shown]
	v_fma_f64 v[116:117], v[112:113], s[0:1], -v[126:127]
	v_fma_f64 v[118:119], v[112:113], s[0:1], v[126:127]
	v_fma_f64 v[120:121], v[112:113], s[20:21], -v[92:93]
	v_fma_f64 v[126:127], v[114:115], s[0:1], v[128:129]
	v_fma_f64 v[92:93], v[112:113], s[20:21], v[92:93]
	v_fma_f64 v[112:113], v[114:115], s[0:1], -v[128:129]
	v_mul_f64 v[128:129], v[64:65], s[18:19]
	v_fma_f64 v[130:131], v[114:115], s[20:21], v[90:91]
	v_fma_f64 v[90:91], v[114:115], s[20:21], -v[90:91]
	v_mul_f64 v[114:115], v[82:83], s[18:19]
	v_add_f64 v[80:81], v[116:117], v[80:81]
	v_add_f64 v[116:117], v[126:127], v[122:123]
	;; [unrolled: 1-line block ×4, first 2 shown]
	v_fma_f64 v[112:113], v[58:59], s[0:1], -v[128:129]
	v_mul_f64 v[122:123], v[64:65], s[38:39]
	v_add_f64 v[50:51], v[90:91], v[50:51]
	v_fma_f64 v[120:121], v[60:61], s[0:1], v[114:115]
	v_mul_f64 v[90:91], v[82:83], s[38:39]
	v_add_f64 v[84:85], v[118:119], v[84:85]
	v_add_f64 v[118:119], v[130:131], v[124:125]
	;; [unrolled: 1-line block ×4, first 2 shown]
	v_fma_f64 v[92:93], v[58:59], s[0:1], v[128:129]
	v_fma_f64 v[112:113], v[60:61], s[0:1], -v[114:115]
	v_add_f64 v[70:71], v[120:121], v[70:71]
	v_fma_f64 v[114:115], v[58:59], s[28:29], -v[122:123]
	v_mul_f64 v[120:121], v[64:65], s[2:3]
	v_fma_f64 v[124:125], v[60:61], s[28:29], v[90:91]
	v_mul_f64 v[126:127], v[82:83], s[2:3]
	v_fma_f64 v[90:91], v[60:61], s[28:29], -v[90:91]
	v_add_f64 v[92:93], v[92:93], v[98:99]
	v_add_f64 v[98:99], v[112:113], v[100:101]
	v_fma_f64 v[100:101], v[58:59], s[28:29], v[122:123]
	v_add_f64 v[102:103], v[114:115], v[102:103]
	v_fma_f64 v[112:113], v[58:59], s[16:17], -v[120:121]
	v_add_f64 v[106:107], v[124:125], v[106:107]
	v_fma_f64 v[114:115], v[60:61], s[16:17], v[126:127]
	v_mul_f64 v[122:123], v[64:65], s[24:25]
	v_mul_f64 v[124:125], v[82:83], s[24:25]
	v_add_f64 v[90:91], v[90:91], v[94:95]
	v_fma_f64 v[94:95], v[58:59], s[16:17], v[120:121]
	v_add_f64 v[88:89], v[100:101], v[88:89]
	v_add_f64 v[68:69], v[112:113], v[68:69]
	v_fma_f64 v[100:101], v[60:61], s[16:17], -v[126:127]
	v_add_f64 v[108:109], v[114:115], v[108:109]
	v_fma_f64 v[112:113], v[58:59], s[20:21], -v[122:123]
	v_fma_f64 v[114:115], v[60:61], s[20:21], v[124:125]
	v_mul_f64 v[64:65], v[64:65], s[22:23]
	v_mul_f64 v[82:83], v[82:83], s[22:23]
	v_add_f64 v[76:77], v[94:95], v[76:77]
	v_fma_f64 v[94:95], v[58:59], s[20:21], v[122:123]
	v_add_f64 v[100:101], v[100:101], v[110:111]
	v_fma_f64 v[110:111], v[60:61], s[20:21], -v[124:125]
	v_add_f64 v[80:81], v[112:113], v[80:81]
	v_add_f64 v[112:113], v[114:115], v[116:117]
	v_fma_f64 v[114:115], v[58:59], s[26:27], -v[64:65]
	v_fma_f64 v[116:117], v[60:61], s[26:27], v[82:83]
	v_mul_f64 v[120:121], v[62:63], s[22:23]
	v_add_f64 v[84:85], v[94:95], v[84:85]
	v_mul_f64 v[94:95], v[56:57], s[22:23]
	v_add_f64 v[96:97], v[110:111], v[96:97]
	v_fma_f64 v[58:59], v[58:59], s[26:27], v[64:65]
	v_fma_f64 v[60:61], v[60:61], s[26:27], -v[82:83]
	v_add_f64 v[64:65], v[114:115], v[104:105]
	v_add_f64 v[82:83], v[116:117], v[118:119]
	v_fma_f64 v[104:105], v[52:53], s[26:27], -v[120:121]
	v_mul_f64 v[110:111], v[62:63], s[36:37]
	v_fma_f64 v[114:115], v[54:55], s[26:27], v[94:95]
	v_mul_f64 v[116:117], v[56:57], s[36:37]
	v_add_f64 v[48:49], v[58:59], v[48:49]
	v_add_f64 v[50:51], v[60:61], v[50:51]
	v_fma_f64 v[58:59], v[52:53], s[26:27], v[120:121]
	v_fma_f64 v[60:61], v[54:55], s[26:27], -v[94:95]
	v_add_f64 v[86:87], v[104:105], v[86:87]
	v_fma_f64 v[94:95], v[52:53], s[0:1], -v[110:111]
	v_add_f64 v[70:71], v[114:115], v[70:71]
	v_fma_f64 v[104:105], v[54:55], s[0:1], v[116:117]
	v_mul_f64 v[114:115], v[62:63], s[24:25]
	v_mul_f64 v[118:119], v[56:57], s[24:25]
	v_add_f64 v[58:59], v[58:59], v[92:93]
	v_fma_f64 v[92:93], v[52:53], s[0:1], v[110:111]
	v_mul_f64 v[110:111], v[62:63], s[30:31]
	v_add_f64 v[94:95], v[94:95], v[102:103]
	v_add_f64 v[60:61], v[60:61], v[98:99]
	;; [unrolled: 1-line block ×3, first 2 shown]
	v_fma_f64 v[104:105], v[52:53], s[20:21], -v[114:115]
	v_fma_f64 v[98:99], v[54:55], s[0:1], -v[116:117]
	v_fma_f64 v[106:107], v[54:55], s[20:21], v[118:119]
	v_mul_f64 v[116:117], v[56:57], s[30:31]
	v_add_f64 v[88:89], v[92:93], v[88:89]
	v_mul_f64 v[62:63], v[62:63], s[2:3]
	v_mul_f64 v[56:57], v[56:57], s[2:3]
	v_fma_f64 v[114:115], v[52:53], s[20:21], v[114:115]
	v_add_f64 v[92:93], v[104:105], v[68:69]
	v_fma_f64 v[68:69], v[52:53], s[28:29], -v[110:111]
	v_add_f64 v[90:91], v[98:99], v[90:91]
	v_add_f64 v[98:99], v[106:107], v[108:109]
	v_fma_f64 v[106:107], v[52:53], s[28:29], v[110:111]
	v_fma_f64 v[104:105], v[54:55], s[28:29], v[116:117]
	v_fma_f64 v[108:109], v[54:55], s[28:29], -v[116:117]
	v_mul_f64 v[110:111], v[78:79], s[30:31]
	v_fma_f64 v[118:119], v[54:55], s[20:21], -v[118:119]
	v_add_f64 v[80:81], v[68:69], v[80:81]
	v_mul_f64 v[68:69], v[66:67], s[30:31]
	v_add_f64 v[76:77], v[114:115], v[76:77]
	v_add_f64 v[84:85], v[106:107], v[84:85]
	v_fma_f64 v[106:107], v[52:53], s[16:17], -v[62:63]
	v_add_f64 v[104:105], v[104:105], v[112:113]
	v_fma_f64 v[112:113], v[54:55], s[16:17], v[56:57]
	v_fma_f64 v[52:53], v[52:53], s[16:17], v[62:63]
	v_fma_f64 v[54:55], v[54:55], s[16:17], -v[56:57]
	v_fma_f64 v[56:57], v[74:75], s[28:29], -v[68:69]
	v_add_f64 v[96:97], v[108:109], v[96:97]
	v_fma_f64 v[62:63], v[72:73], s[28:29], v[110:111]
	v_add_f64 v[106:107], v[106:107], v[64:65]
	v_mul_f64 v[64:65], v[66:67], s[34:35]
	v_mul_f64 v[108:109], v[78:79], s[34:35]
	v_add_f64 v[82:83], v[112:113], v[82:83]
	v_add_f64 v[112:113], v[52:53], v[48:49]
	;; [unrolled: 1-line block ×4, first 2 shown]
	v_fma_f64 v[54:55], v[72:73], s[28:29], -v[110:111]
	v_mul_f64 v[86:87], v[66:67], s[22:23]
	v_add_f64 v[50:51], v[62:63], v[70:71]
	v_fma_f64 v[52:53], v[74:75], s[28:29], v[68:69]
	v_fma_f64 v[56:57], v[74:75], s[20:21], -v[64:65]
	v_fma_f64 v[62:63], v[72:73], s[20:21], v[108:109]
	v_mul_f64 v[110:111], v[78:79], s[22:23]
	v_fma_f64 v[64:65], v[74:75], s[20:21], v[64:65]
	v_fma_f64 v[108:109], v[72:73], s[20:21], -v[108:109]
	v_add_f64 v[70:71], v[54:55], v[60:61]
	v_fma_f64 v[60:61], v[74:75], s[26:27], -v[86:87]
	v_add_f64 v[100:101], v[118:119], v[100:101]
	v_add_f64 v[68:69], v[52:53], v[58:59]
	;; [unrolled: 1-line block ×6, first 2 shown]
	v_fma_f64 v[64:65], v[74:75], s[26:27], v[86:87]
	v_fma_f64 v[86:87], v[72:73], s[26:27], -v[110:111]
	v_mul_f64 v[88:89], v[66:67], s[2:3]
	v_mul_f64 v[90:91], v[78:79], s[2:3]
	v_fma_f64 v[62:63], v[72:73], s[26:27], v[110:111]
	v_add_f64 v[60:61], v[60:61], v[92:93]
	v_mul_f64 v[92:93], v[66:67], s[18:19]
	v_mul_f64 v[78:79], v[78:79], s[18:19]
	v_add_f64 v[64:65], v[64:65], v[76:77]
	v_add_f64 v[66:67], v[86:87], v[100:101]
	v_fma_f64 v[76:77], v[74:75], s[16:17], -v[88:89]
	v_fma_f64 v[86:87], v[72:73], s[16:17], v[90:91]
	v_add_f64 v[62:63], v[62:63], v[98:99]
	v_fma_f64 v[88:89], v[74:75], s[16:17], v[88:89]
	v_fma_f64 v[94:95], v[74:75], s[0:1], -v[92:93]
	v_fma_f64 v[98:99], v[72:73], s[0:1], v[78:79]
	v_fma_f64 v[92:93], v[74:75], s[0:1], v[92:93]
	v_fma_f64 v[100:101], v[72:73], s[0:1], -v[78:79]
	v_fma_f64 v[90:91], v[72:73], s[16:17], -v[90:91]
	v_add_f64 v[72:73], v[76:77], v[80:81]
	v_add_f64 v[74:75], v[86:87], v[104:105]
	;; [unrolled: 1-line block ×8, first 2 shown]
	ds_write_b128 v208, v[44:47]
	ds_write_b128 v208, v[48:51] offset:16
	ds_write_b128 v208, v[52:55] offset:32
	;; [unrolled: 1-line block ×10, first 2 shown]
	s_waitcnt lgkmcnt(0)
	s_barrier
	ds_read_b128 v[72:75], v213
	ds_read_b128 v[76:79], v213 offset:2464
	ds_read_b128 v[92:95], v213 offset:16016
	ds_read_b128 v[100:103], v213 offset:18480
	ds_read_b128 v[84:87], v213 offset:4928
	ds_read_b128 v[80:83], v213 offset:7392
	ds_read_b128 v[96:99], v213 offset:13552
	ds_read_b128 v[88:91], v213 offset:9856
	ds_read_b128 v[108:111], v213 offset:20944
	ds_read_b128 v[104:107], v213 offset:23408
	s_movk_i32 s0, 0x4d
	v_cmp_gt_u16_e64 s[0:1], s0, v214
                                        ; implicit-def: $vgpr112_vgpr113
	s_and_saveexec_b64 s[2:3], s[0:1]
	s_cbranch_execz .LBB0_3
; %bb.2:
	ds_read_b128 v[68:71], v213 offset:12320
	ds_read_b128 v[112:115], v213 offset:25872
.LBB0_3:
	s_or_b64 exec, exec, s[2:3]
	s_movk_i32 s2, 0x134
	v_add_co_u32_e32 v0, vcc, s2, v214
	s_movk_i32 s2, 0x1ce
	v_add_co_u32_e32 v1, vcc, s2, v214
	;; [unrolled: 2-line block ×3, first 2 shown]
	s_movk_i32 s2, 0x75
	v_mul_lo_u16_sdwa v3, v214, s2 dst_sel:DWORD dst_unused:UNUSED_PAD src0_sel:BYTE_0 src1_sel:DWORD
	v_sub_u16_sdwa v44, v214, v3 dst_sel:DWORD dst_unused:UNUSED_PAD src0_sel:DWORD src1_sel:BYTE_1
	v_lshrrev_b16_e32 v44, 1, v44
	v_and_b32_e32 v44, 0x7f, v44
	v_add_u16_sdwa v3, v44, v3 dst_sel:DWORD dst_unused:UNUSED_PAD src0_sel:DWORD src1_sel:BYTE_1
	v_lshrrev_b16_e32 v3, 3, v3
	v_mul_lo_u16_e32 v44, 11, v3
	v_add_co_u32_e32 v180, vcc, 0x9a, v214
	v_sub_u16_e32 v44, v214, v44
	s_mov_b32 s2, 0xba2f
	v_and_b32_e32 v116, 0xff, v44
	v_mul_u32_u24_sdwa v44, v180, s2 dst_sel:DWORD dst_unused:UNUSED_PAD src0_sel:WORD_0 src1_sel:DWORD
	v_lshrrev_b32_e32 v117, 19, v44
	v_mul_u32_u24_sdwa v44, v0, s2 dst_sel:DWORD dst_unused:UNUSED_PAD src0_sel:WORD_0 src1_sel:DWORD
	v_lshrrev_b32_e32 v118, 19, v44
	v_mul_lo_u16_e32 v44, 11, v118
	v_sub_u16_e32 v0, v0, v44
	v_mul_u32_u24_sdwa v44, v1, s2 dst_sel:DWORD dst_unused:UNUSED_PAD src0_sel:WORD_0 src1_sel:DWORD
	v_lshrrev_b32_e32 v119, 19, v44
	v_mul_lo_u16_e32 v44, 11, v119
	v_lshlrev_b32_e32 v52, 4, v0
	v_sub_u16_e32 v1, v1, v44
	v_lshlrev_b32_e32 v53, 4, v1
	global_load_dwordx4 v[48:51], v52, s[14:15]
	global_load_dwordx4 v[44:47], v53, s[14:15]
	v_mul_u32_u24_sdwa v52, v2, s2 dst_sel:DWORD dst_unused:UNUSED_PAD src0_sel:WORD_0 src1_sel:DWORD
	v_lshrrev_b32_e32 v120, 19, v52
	v_add_u16_e32 v53, 0x302, v214
	v_mul_lo_u16_e32 v52, 11, v120
	v_mul_u32_u24_e32 v54, 0xba2f, v53
	v_mul_lo_u16_e32 v61, 11, v117
	v_sub_u16_e32 v2, v2, v52
	v_lshrrev_b32_e32 v54, 19, v54
	v_lshlrev_b32_e32 v60, 4, v116
	v_lshlrev_b32_e32 v52, 4, v2
	buffer_store_dword v54, off, s[44:47], 0 offset:24 ; 4-byte Folded Spill
	v_mul_lo_u16_e32 v54, 11, v54
	v_sub_u16_e32 v121, v180, v61
	v_sub_u16_e32 v56, v53, v54
	global_load_dwordx4 v[52:55], v52, s[14:15]
	v_lshlrev_b32_e32 v64, 4, v121
	global_load_dwordx4 v[60:63], v60, s[14:15]
	v_mad_legacy_u16 v117, v117, 22, v121
	global_load_dwordx4 v[64:67], v64, s[14:15]
	v_mul_u32_u24_e32 v3, 22, v3
	buffer_store_dword v56, off, s[44:47], 0 offset:28 ; 4-byte Folded Spill
	v_lshlrev_b32_e32 v56, 4, v56
	global_load_dwordx4 v[56:59], v56, s[14:15]
	v_lshlrev_b32_e32 v140, 4, v117
	v_mad_legacy_u16 v0, v118, 22, v0
	v_mad_legacy_u16 v1, v119, 22, v1
	;; [unrolled: 1-line block ×3, first 2 shown]
	v_add_lshl_u32 v221, v3, v116, 4
	v_lshlrev_b32_e32 v141, 4, v0
	v_lshlrev_b32_e32 v255, 4, v1
	;; [unrolled: 1-line block ×3, first 2 shown]
	s_waitcnt vmcnt(0) lgkmcnt(0)
	s_barrier
	v_mul_f64 v[116:117], v[102:103], v[50:51]
	v_mul_f64 v[118:119], v[100:101], v[50:51]
	;; [unrolled: 1-line block ×4, first 2 shown]
	v_fma_f64 v[100:101], v[100:101], v[48:49], -v[116:117]
	v_fma_f64 v[102:103], v[102:103], v[48:49], v[118:119]
	v_fma_f64 v[108:109], v[108:109], v[44:45], -v[120:121]
	v_fma_f64 v[110:111], v[110:111], v[44:45], v[122:123]
	v_mul_f64 v[124:125], v[106:107], v[54:55]
	v_mul_f64 v[126:127], v[104:105], v[54:55]
	;; [unrolled: 1-line block ×8, first 2 shown]
	v_fma_f64 v[104:105], v[104:105], v[52:53], -v[124:125]
	v_fma_f64 v[116:117], v[106:107], v[52:53], v[126:127]
	v_fma_f64 v[106:107], v[96:97], v[60:61], -v[132:133]
	v_fma_f64 v[118:119], v[98:99], v[60:61], v[134:135]
	;; [unrolled: 2-line block ×4, first 2 shown]
	v_add_f64 v[92:93], v[84:85], -v[100:101]
	v_add_f64 v[94:95], v[86:87], -v[102:103]
	;; [unrolled: 1-line block ×12, first 2 shown]
	v_fma_f64 v[84:85], v[84:85], 2.0, -v[92:93]
	v_fma_f64 v[72:73], v[72:73], 2.0, -v[104:105]
	;; [unrolled: 1-line block ×10, first 2 shown]
	ds_write_b128 v221, v[104:107] offset:176
	ds_write_b128 v221, v[72:75]
	ds_write_b128 v140, v[76:79]
	buffer_store_dword v140, off, s[44:47], 0 offset:32 ; 4-byte Folded Spill
	ds_write_b128 v140, v[108:111] offset:176
	ds_write_b128 v141, v[84:87]
	buffer_store_dword v141, off, s[44:47], 0 offset:40 ; 4-byte Folded Spill
	ds_write_b128 v141, v[92:95] offset:176
	ds_write_b128 v255, v[80:83]
	ds_write_b128 v255, v[96:99] offset:176
	ds_write_b128 v0, v[88:91]
	buffer_store_dword v0, off, s[44:47], 0 offset:36 ; 4-byte Folded Spill
	ds_write_b128 v0, v[100:103] offset:176
	s_and_saveexec_b64 s[2:3], s[0:1]
	s_cbranch_execz .LBB0_5
; %bb.4:
	buffer_load_dword v0, off, s[44:47], 0 offset:24 ; 4-byte Folded Reload
	buffer_load_dword v1, off, s[44:47], 0 offset:28 ; 4-byte Folded Reload
	v_fma_f64 v[70:71], v[70:71], 2.0, -v[150:151]
	v_fma_f64 v[68:69], v[68:69], 2.0, -v[148:149]
	s_waitcnt vmcnt(0)
	v_mad_legacy_u16 v0, v0, 22, v1
	v_lshlrev_b32_e32 v0, 4, v0
	ds_write_b128 v0, v[68:71]
	ds_write_b128 v0, v[148:151] offset:176
.LBB0_5:
	s_or_b64 exec, exec, s[2:3]
	v_lshrrev_b16_e32 v0, 1, v214
	v_and_b32_e32 v0, 0x7f, v0
	v_mul_lo_u16_e32 v0, 0xbb, v0
	v_lshrrev_b16_e32 v108, 11, v0
	v_mul_lo_u16_e32 v0, 22, v108
	v_sub_u16_e32 v0, v214, v0
	v_mov_b32_e32 v69, s15
	v_and_b32_e32 v109, 0xff, v0
	s_movk_i32 s2, 0xa0
	v_mov_b32_e32 v68, s14
	v_mad_u64_u32 v[92:93], s[2:3], v109, s2, v[68:69]
	s_waitcnt vmcnt(0) lgkmcnt(0)
	s_barrier
	global_load_dwordx4 v[104:107], v[92:93], off offset:176
	global_load_dwordx4 v[96:99], v[92:93], off offset:192
	;; [unrolled: 1-line block ×9, first 2 shown]
	s_nop 0
	global_load_dwordx4 v[92:95], v[92:93], off offset:320
	ds_read_b128 v[110:113], v213
	ds_read_b128 v[114:117], v213 offset:2464
	ds_read_b128 v[118:121], v213 offset:4928
	;; [unrolled: 1-line block ×10, first 2 shown]
	s_mov_b32 s30, 0xf8bb580b
	s_mov_b32 s26, 0xbb3a28a1
	;; [unrolled: 1-line block ×22, first 2 shown]
	v_mul_u32_u24_e32 v0, 0xf2, v108
	s_waitcnt vmcnt(0) lgkmcnt(0)
	s_barrier
	v_mul_f64 v[146:147], v[116:117], v[106:107]
	v_mul_f64 v[160:161], v[114:115], v[106:107]
	;; [unrolled: 1-line block ×12, first 2 shown]
	v_fma_f64 v[114:115], v[114:115], v[104:105], -v[146:147]
	v_fma_f64 v[116:117], v[116:117], v[104:105], v[160:161]
	v_fma_f64 v[118:119], v[118:119], v[96:97], -v[162:163]
	v_fma_f64 v[120:121], v[120:121], v[96:97], v[164:165]
	;; [unrolled: 2-line block ×4, first 2 shown]
	v_add_f64 v[158:159], v[110:111], v[114:115]
	v_add_f64 v[160:161], v[112:113], v[116:117]
	v_fma_f64 v[122:123], v[122:123], v[80:81], -v[166:167]
	v_fma_f64 v[124:125], v[124:125], v[80:81], v[168:169]
	v_fma_f64 v[126:127], v[126:127], v[72:73], -v[170:171]
	v_fma_f64 v[128:129], v[128:129], v[72:73], v[172:173]
	v_add_f64 v[166:167], v[118:119], v[152:153]
	v_add_f64 v[168:169], v[120:121], v[154:155]
	v_add_f64 v[170:171], v[118:119], -v[152:153]
	v_add_f64 v[172:173], v[120:121], -v[154:155]
	v_add_f64 v[118:119], v[158:159], v[118:119]
	v_add_f64 v[120:121], v[160:161], v[120:121]
	v_mul_f64 v[174:175], v[132:133], v[102:103]
	v_mul_f64 v[176:177], v[130:131], v[102:103]
	;; [unrolled: 1-line block ×5, first 2 shown]
	v_add_f64 v[164:165], v[116:117], v[156:157]
	v_add_f64 v[118:119], v[118:119], v[122:123]
	;; [unrolled: 1-line block ×3, first 2 shown]
	v_fma_f64 v[130:131], v[130:131], v[100:101], -v[174:175]
	v_fma_f64 v[132:133], v[132:133], v[100:101], v[176:177]
	v_add_f64 v[116:117], v[116:117], -v[156:157]
	v_mul_f64 v[185:186], v[138:139], v[78:79]
	v_fma_f64 v[134:135], v[134:135], v[84:85], -v[178:179]
	v_fma_f64 v[136:137], v[136:137], v[84:85], v[181:182]
	v_add_f64 v[118:119], v[118:119], v[126:127]
	v_add_f64 v[120:121], v[120:121], v[128:129]
	v_fma_f64 v[138:139], v[138:139], v[76:77], -v[183:184]
	v_add_f64 v[162:163], v[114:115], v[146:147]
	v_add_f64 v[114:115], v[114:115], -v[146:147]
	v_mul_f64 v[158:159], v[116:117], s[30:31]
	v_mul_f64 v[174:175], v[116:117], s[20:21]
	;; [unrolled: 1-line block ×5, first 2 shown]
	v_add_f64 v[118:119], v[118:119], v[130:131]
	v_add_f64 v[120:121], v[120:121], v[132:133]
	v_mul_f64 v[189:190], v[142:143], v[70:71]
	v_fma_f64 v[140:141], v[140:141], v[76:77], v[185:186]
	v_mul_f64 v[160:161], v[114:115], s[30:31]
	v_mul_f64 v[176:177], v[114:115], s[20:21]
	;; [unrolled: 1-line block ×5, first 2 shown]
	v_fma_f64 v[195:196], v[162:163], s[22:23], -v[158:159]
	v_fma_f64 v[158:159], v[162:163], s[22:23], v[158:159]
	v_fma_f64 v[199:200], v[162:163], s[2:3], -v[174:175]
	v_fma_f64 v[174:175], v[162:163], s[2:3], v[174:175]
	;; [unrolled: 2-line block ×5, first 2 shown]
	v_add_f64 v[116:117], v[118:119], v[134:135]
	v_add_f64 v[118:119], v[120:121], v[136:137]
	v_mul_f64 v[187:188], v[144:145], v[70:71]
	v_fma_f64 v[144:145], v[144:145], v[68:69], v[189:190]
	v_fma_f64 v[226:227], v[164:165], s[28:29], v[114:115]
	v_fma_f64 v[120:121], v[164:165], s[28:29], -v[114:115]
	v_mul_f64 v[189:190], v[170:171], s[20:21]
	v_fma_f64 v[197:198], v[164:165], s[22:23], v[160:161]
	v_add_f64 v[114:115], v[116:117], v[138:139]
	v_add_f64 v[116:117], v[118:119], v[140:141]
	v_fma_f64 v[142:143], v[142:143], v[68:69], -v[187:188]
	v_mul_f64 v[187:188], v[172:173], s[20:21]
	v_fma_f64 v[160:161], v[164:165], s[22:23], -v[160:161]
	v_mul_f64 v[193:194], v[170:171], s[26:27]
	v_fma_f64 v[201:202], v[164:165], s[2:3], v[176:177]
	v_fma_f64 v[176:177], v[164:165], s[2:3], -v[176:177]
	v_fma_f64 v[205:206], v[164:165], s[16:17], v[181:182]
	v_add_f64 v[116:117], v[116:117], v[144:145]
	v_fma_f64 v[181:182], v[164:165], s[16:17], -v[181:182]
	v_fma_f64 v[222:223], v[164:165], s[24:25], v[185:186]
	v_fma_f64 v[185:186], v[164:165], s[24:25], -v[185:186]
	v_fma_f64 v[164:165], v[166:167], s[2:3], -v[187:188]
	v_fma_f64 v[228:229], v[168:169], s[2:3], v[189:190]
	v_fma_f64 v[189:190], v[168:169], s[2:3], -v[189:190]
	v_add_f64 v[118:119], v[110:111], v[195:196]
	v_add_f64 v[160:161], v[112:113], v[160:161]
	v_add_f64 v[114:115], v[114:115], v[142:143]
	v_add_f64 v[116:117], v[116:117], v[154:155]
	v_mul_f64 v[191:192], v[172:173], s[26:27]
	v_fma_f64 v[187:188], v[166:167], s[2:3], v[187:188]
	v_add_f64 v[195:196], v[112:113], v[197:198]
	v_add_f64 v[158:159], v[110:111], v[158:159]
	;; [unrolled: 1-line block ×16, first 2 shown]
	v_fma_f64 v[160:161], v[168:169], s[24:25], v[193:194]
	v_mul_f64 v[162:163], v[172:173], s[40:41]
	v_mul_f64 v[164:165], v[170:171], s[40:41]
	v_fma_f64 v[230:231], v[166:167], s[24:25], -v[191:192]
	v_add_f64 v[176:177], v[112:113], v[176:177]
	v_add_f64 v[181:182], v[112:113], v[181:182]
	;; [unrolled: 1-line block ×9, first 2 shown]
	v_mul_f64 v[187:188], v[172:173], s[38:39]
	v_add_f64 v[160:161], v[160:161], v[199:200]
	v_fma_f64 v[189:190], v[166:167], s[24:25], v[191:192]
	v_fma_f64 v[191:192], v[168:169], s[24:25], -v[193:194]
	v_fma_f64 v[193:194], v[166:167], s[28:29], -v[162:163]
	v_fma_f64 v[195:196], v[168:169], s[28:29], v[164:165]
	v_fma_f64 v[162:163], v[166:167], s[28:29], v[162:163]
	v_fma_f64 v[164:165], v[168:169], s[28:29], -v[164:165]
	v_mul_f64 v[199:200], v[170:171], s[38:39]
	v_mul_f64 v[172:173], v[172:173], s[36:37]
	;; [unrolled: 1-line block ×3, first 2 shown]
	v_add_f64 v[158:159], v[230:231], v[197:198]
	v_fma_f64 v[197:198], v[166:167], s[16:17], -v[187:188]
	v_add_f64 v[174:175], v[189:190], v[174:175]
	v_add_f64 v[162:163], v[162:163], v[178:179]
	;; [unrolled: 1-line block ×3, first 2 shown]
	v_fma_f64 v[178:179], v[168:169], s[16:17], v[199:200]
	v_fma_f64 v[181:182], v[166:167], s[16:17], v[187:188]
	v_add_f64 v[176:177], v[191:192], v[176:177]
	v_add_f64 v[189:190], v[193:194], v[201:202]
	;; [unrolled: 1-line block ×3, first 2 shown]
	v_add_f64 v[187:188], v[124:125], -v[144:145]
	v_fma_f64 v[193:194], v[168:169], s[16:17], -v[199:200]
	v_fma_f64 v[195:196], v[168:169], s[22:23], v[170:171]
	v_add_f64 v[154:155], v[178:179], v[154:155]
	v_add_f64 v[178:179], v[122:123], -v[142:143]
	v_add_f64 v[181:182], v[181:182], v[183:184]
	v_fma_f64 v[183:184], v[166:167], s[22:23], -v[172:173]
	v_add_f64 v[122:123], v[122:123], v[142:143]
	v_mul_f64 v[142:143], v[187:188], s[18:19]
	v_add_f64 v[185:186], v[193:194], v[185:186]
	v_add_f64 v[124:125], v[124:125], v[144:145]
	v_fma_f64 v[166:167], v[166:167], s[22:23], v[172:173]
	v_mul_f64 v[144:145], v[178:179], s[18:19]
	v_fma_f64 v[168:169], v[168:169], s[22:23], -v[170:171]
	v_add_f64 v[172:173], v[183:184], v[205:206]
	v_add_f64 v[183:184], v[195:196], v[210:211]
	v_mul_f64 v[193:194], v[187:188], s[40:41]
	v_mul_f64 v[195:196], v[178:179], s[40:41]
	v_add_f64 v[152:153], v[197:198], v[152:153]
	v_fma_f64 v[170:171], v[122:123], s[16:17], -v[142:143]
	v_fma_f64 v[197:198], v[124:125], s[16:17], v[144:145]
	v_add_f64 v[110:111], v[166:167], v[110:111]
	v_add_f64 v[112:113], v[168:169], v[112:113]
	v_fma_f64 v[142:143], v[122:123], s[16:17], v[142:143]
	v_fma_f64 v[144:145], v[124:125], s[16:17], -v[144:145]
	v_fma_f64 v[166:167], v[122:123], s[28:29], -v[193:194]
	v_fma_f64 v[168:169], v[124:125], s[28:29], v[195:196]
	s_mov_b32 s21, 0x3fed1bb4
	v_add_f64 v[118:119], v[170:171], v[118:119]
	v_mul_f64 v[170:171], v[187:188], s[20:21]
	v_add_f64 v[120:121], v[197:198], v[120:121]
	v_add_f64 v[142:143], v[142:143], v[146:147]
	;; [unrolled: 1-line block ×5, first 2 shown]
	v_fma_f64 v[158:159], v[122:123], s[28:29], v[193:194]
	v_fma_f64 v[160:161], v[124:125], s[28:29], -v[195:196]
	v_mul_f64 v[193:194], v[187:188], s[30:31]
	v_mul_f64 v[195:196], v[178:179], s[30:31]
	;; [unrolled: 1-line block ×3, first 2 shown]
	v_fma_f64 v[166:167], v[122:123], s[2:3], -v[170:171]
	v_fma_f64 v[170:171], v[122:123], s[2:3], v[170:171]
	v_mul_f64 v[178:179], v[178:179], s[26:27]
	v_add_f64 v[158:159], v[158:159], v[174:175]
	v_add_f64 v[160:161], v[160:161], v[176:177]
	v_fma_f64 v[174:175], v[122:123], s[22:23], -v[193:194]
	v_fma_f64 v[176:177], v[124:125], s[22:23], v[195:196]
	v_fma_f64 v[168:169], v[124:125], s[2:3], v[197:198]
	v_add_f64 v[166:167], v[166:167], v[189:190]
	v_add_f64 v[162:163], v[170:171], v[162:163]
	v_mul_f64 v[170:171], v[187:188], s[26:27]
	v_fma_f64 v[187:188], v[122:123], s[22:23], v[193:194]
	v_fma_f64 v[189:190], v[124:125], s[22:23], -v[195:196]
	v_add_f64 v[152:153], v[174:175], v[152:153]
	v_add_f64 v[154:155], v[176:177], v[154:155]
	v_add_f64 v[174:175], v[128:129], -v[140:141]
	v_add_f64 v[176:177], v[126:127], -v[138:139]
	v_add_f64 v[168:169], v[168:169], v[191:192]
	v_fma_f64 v[191:192], v[122:123], s[24:25], -v[170:171]
	v_add_f64 v[126:127], v[126:127], v[138:139]
	v_add_f64 v[128:129], v[128:129], v[140:141]
	v_fma_f64 v[122:123], v[122:123], s[24:25], v[170:171]
	v_fma_f64 v[197:198], v[124:125], s[2:3], -v[197:198]
	v_mul_f64 v[138:139], v[174:175], s[26:27]
	v_mul_f64 v[140:141], v[176:177], s[26:27]
	;; [unrolled: 1-line block ×3, first 2 shown]
	v_fma_f64 v[193:194], v[124:125], s[24:25], v[178:179]
	v_add_f64 v[181:182], v[187:188], v[181:182]
	v_add_f64 v[185:186], v[189:190], v[185:186]
	v_fma_f64 v[124:125], v[124:125], s[24:25], -v[178:179]
	v_mul_f64 v[178:179], v[176:177], s[38:39]
	v_fma_f64 v[187:188], v[126:127], s[24:25], -v[138:139]
	v_fma_f64 v[189:190], v[128:129], s[24:25], v[140:141]
	v_fma_f64 v[138:139], v[126:127], s[24:25], v[138:139]
	v_fma_f64 v[140:141], v[128:129], s[24:25], -v[140:141]
	v_add_f64 v[110:111], v[122:123], v[110:111]
	v_fma_f64 v[122:123], v[126:127], s[16:17], -v[170:171]
	v_add_f64 v[112:113], v[124:125], v[112:113]
	v_fma_f64 v[124:125], v[128:129], s[16:17], v[178:179]
	v_add_f64 v[172:173], v[191:192], v[172:173]
	v_add_f64 v[118:119], v[187:188], v[118:119]
	;; [unrolled: 1-line block ×4, first 2 shown]
	v_mul_f64 v[142:143], v[174:175], s[30:31]
	v_mul_f64 v[144:145], v[176:177], s[30:31]
	v_add_f64 v[122:123], v[122:123], v[146:147]
	v_mul_f64 v[146:147], v[174:175], s[34:35]
	v_add_f64 v[120:121], v[189:190], v[120:121]
	v_add_f64 v[124:125], v[124:125], v[156:157]
	v_mul_f64 v[156:157], v[176:177], s[34:35]
	v_fma_f64 v[170:171], v[126:127], s[16:17], v[170:171]
	v_fma_f64 v[187:188], v[126:127], s[22:23], -v[142:143]
	v_fma_f64 v[189:190], v[128:129], s[22:23], v[144:145]
	v_fma_f64 v[142:143], v[126:127], s[22:23], v[142:143]
	v_fma_f64 v[191:192], v[126:127], s[28:29], -v[146:147]
	v_add_f64 v[164:165], v[197:198], v[164:165]
	v_add_f64 v[183:184], v[193:194], v[183:184]
	v_fma_f64 v[178:179], v[128:129], s[16:17], -v[178:179]
	v_fma_f64 v[144:145], v[128:129], s[22:23], -v[144:145]
	v_fma_f64 v[193:194], v[128:129], s[28:29], v[156:157]
	v_add_f64 v[158:159], v[170:171], v[158:159]
	v_add_f64 v[170:171], v[187:188], v[166:167]
	;; [unrolled: 1-line block ×5, first 2 shown]
	v_add_f64 v[187:188], v[132:133], -v[136:137]
	v_add_f64 v[189:190], v[130:131], -v[134:135]
	v_mul_f64 v[152:153], v[174:175], s[20:21]
	v_add_f64 v[160:161], v[178:179], v[160:161]
	v_add_f64 v[144:145], v[144:145], v[164:165]
	;; [unrolled: 1-line block ×3, first 2 shown]
	v_mul_f64 v[154:155], v[176:177], s[20:21]
	v_fma_f64 v[156:157], v[128:129], s[28:29], -v[156:157]
	v_add_f64 v[130:131], v[130:131], v[134:135]
	v_add_f64 v[132:133], v[132:133], v[136:137]
	v_mul_f64 v[134:135], v[187:188], s[34:35]
	v_mul_f64 v[136:137], v[189:190], s[34:35]
	v_fma_f64 v[164:165], v[126:127], s[2:3], -v[152:153]
	v_fma_f64 v[146:147], v[126:127], s[28:29], v[146:147]
	v_fma_f64 v[166:167], v[128:129], s[2:3], v[154:155]
	v_add_f64 v[174:175], v[156:157], v[185:186]
	v_fma_f64 v[126:127], v[126:127], s[2:3], v[152:153]
	v_fma_f64 v[128:129], v[128:129], s[2:3], -v[154:155]
	v_fma_f64 v[152:153], v[130:131], s[28:29], -v[134:135]
	v_fma_f64 v[154:155], v[132:133], s[28:29], v[136:137]
	v_add_f64 v[172:173], v[164:165], v[172:173]
	v_mul_f64 v[156:157], v[187:188], s[36:37]
	v_mul_f64 v[164:165], v[189:190], s[36:37]
	v_add_f64 v[146:147], v[146:147], v[181:182]
	v_add_f64 v[176:177], v[166:167], v[183:184]
	;; [unrolled: 1-line block ×6, first 2 shown]
	v_fma_f64 v[118:119], v[130:131], s[28:29], v[134:135]
	v_fma_f64 v[120:121], v[132:133], s[28:29], -v[136:137]
	v_fma_f64 v[126:127], v[130:131], s[22:23], -v[156:157]
	v_fma_f64 v[128:129], v[132:133], s[22:23], v[164:165]
	v_mul_f64 v[134:135], v[187:188], s[26:27]
	v_mul_f64 v[136:137], v[189:190], s[26:27]
	v_fma_f64 v[154:155], v[132:133], s[22:23], -v[164:165]
	v_fma_f64 v[152:153], v[130:131], s[22:23], v[156:157]
	v_add_f64 v[164:165], v[118:119], v[138:139]
	v_add_f64 v[166:167], v[120:121], v[140:141]
	;; [unrolled: 1-line block ×4, first 2 shown]
	v_fma_f64 v[122:123], v[130:131], s[24:25], -v[134:135]
	v_fma_f64 v[124:125], v[132:133], s[24:25], v[136:137]
	v_fma_f64 v[126:127], v[130:131], s[24:25], v[134:135]
	v_fma_f64 v[128:129], v[132:133], s[24:25], -v[136:137]
	v_mul_f64 v[134:135], v[187:188], s[20:21]
	v_mul_f64 v[136:137], v[189:190], s[20:21]
	;; [unrolled: 1-line block ×4, first 2 shown]
	v_add_f64 v[122:123], v[122:123], v[170:171]
	v_add_f64 v[124:125], v[124:125], v[168:169]
	;; [unrolled: 1-line block ×4, first 2 shown]
	v_fma_f64 v[126:127], v[130:131], s[2:3], -v[134:135]
	v_fma_f64 v[128:129], v[132:133], s[2:3], v[136:137]
	v_fma_f64 v[142:143], v[130:131], s[16:17], -v[138:139]
	v_fma_f64 v[144:145], v[132:133], s[16:17], v[140:141]
	v_fma_f64 v[134:135], v[130:131], s[2:3], v[134:135]
	v_fma_f64 v[136:137], v[132:133], s[2:3], -v[136:137]
	v_fma_f64 v[138:139], v[130:131], s[16:17], v[138:139]
	v_fma_f64 v[140:141], v[132:133], s[16:17], -v[140:141]
	v_add_f64 v[126:127], v[126:127], v[162:163]
	v_add_f64 v[128:129], v[128:129], v[178:179]
	;; [unrolled: 1-line block ×9, first 2 shown]
	v_add_lshl_u32 v222, v0, v109, 4
	v_add_f64 v[154:155], v[154:155], v[160:161]
	ds_write_b128 v222, v[114:117]
	ds_write_b128 v222, v[110:113] offset:352
	ds_write_b128 v222, v[118:121] offset:704
	;; [unrolled: 1-line block ×10, first 2 shown]
	s_waitcnt lgkmcnt(0)
	s_barrier
	ds_read_b128 v[160:163], v213
	ds_read_b128 v[144:147], v213 offset:3872
	ds_read_b128 v[140:143], v213 offset:7744
	;; [unrolled: 1-line block ×6, first 2 shown]
	s_movk_i32 s2, 0x58
	v_cmp_gt_u16_e64 s[2:3], s2, v214
                                        ; implicit-def: $vgpr172_vgpr173
                                        ; implicit-def: $vgpr176_vgpr177
	s_and_saveexec_b64 s[16:17], s[2:3]
	s_cbranch_execz .LBB0_7
; %bb.6:
	ds_read_b128 v[156:159], v213 offset:2464
	ds_read_b128 v[168:171], v213 offset:6336
	;; [unrolled: 1-line block ×7, first 2 shown]
.LBB0_7:
	s_or_b64 exec, exec, s[16:17]
	v_mov_b32_e32 v117, s15
	s_movk_i32 s12, 0x60
	v_mov_b32_e32 v116, s14
	v_mad_u64_u32 v[181:182], s[16:17], v214, s12, v[116:117]
	v_add_u32_e32 v0, 0xffffffa8, v214
	global_load_dwordx4 v[116:119], v[181:182], off offset:3744
	global_load_dwordx4 v[124:127], v[181:182], off offset:3728
	;; [unrolled: 1-line block ×4, first 2 shown]
	v_cndmask_b32_e64 v0, v0, v180, s[2:3]
	v_mul_hi_i32_i24_e32 v1, 0x60, v0
	v_mul_i32_i24_e32 v0, 0x60, v0
	v_add_co_u32_e32 v192, vcc, s14, v0
	v_mov_b32_e32 v0, s15
	v_addc_co_u32_e32 v193, vcc, v0, v1, vcc
	s_mov_b32 s14, 0x37e14327
	s_mov_b32 s16, 0x36b3c0b5
	;; [unrolled: 1-line block ×20, first 2 shown]
	s_waitcnt vmcnt(0) lgkmcnt(5)
	v_mul_f64 v[183:184], v[146:147], v[134:135]
	v_fma_f64 v[194:195], v[144:145], v[132:133], -v[183:184]
	v_mul_f64 v[144:145], v[144:145], v[134:135]
	v_fma_f64 v[196:197], v[146:147], v[132:133], v[144:145]
	s_waitcnt lgkmcnt(4)
	v_mul_f64 v[144:145], v[142:143], v[130:131]
	v_fma_f64 v[198:199], v[140:141], v[128:129], -v[144:145]
	v_mul_f64 v[140:141], v[140:141], v[130:131]
	v_fma_f64 v[200:201], v[142:143], v[128:129], v[140:141]
	s_waitcnt lgkmcnt(3)
	;; [unrolled: 5-line block ×3, first 2 shown]
	v_mul_f64 v[136:137], v[122:123], v[118:119]
	v_fma_f64 v[206:207], v[120:121], v[116:117], -v[136:137]
	global_load_dwordx4 v[144:147], v[181:182], off offset:3776
	global_load_dwordx4 v[136:139], v[181:182], off offset:3760
	v_mul_f64 v[120:121], v[120:121], v[118:119]
	v_fma_f64 v[210:211], v[122:123], v[116:117], v[120:121]
	v_add_f64 v[231:232], v[204:205], v[210:211]
	s_waitcnt vmcnt(0) lgkmcnt(1)
	v_mul_f64 v[120:121], v[114:115], v[138:139]
	v_fma_f64 v[223:224], v[112:113], v[136:137], -v[120:121]
	v_mul_f64 v[112:113], v[112:113], v[138:139]
	v_fma_f64 v[225:226], v[114:115], v[136:137], v[112:113]
	s_waitcnt lgkmcnt(0)
	v_mul_f64 v[112:113], v[110:111], v[146:147]
	v_fma_f64 v[227:228], v[108:109], v[144:145], -v[112:113]
	v_mul_f64 v[108:109], v[108:109], v[146:147]
	v_fma_f64 v[229:230], v[110:111], v[144:145], v[108:109]
	global_load_dwordx4 v[108:111], v[192:193], off offset:3744
	global_load_dwordx4 v[112:115], v[192:193], off offset:3728
	global_load_dwordx4 v[120:123], v[192:193], off offset:3712
	global_load_dwordx4 v[140:143], v[192:193], off offset:3696
	s_waitcnt vmcnt(0)
	v_mul_f64 v[180:181], v[170:171], v[142:143]
	v_fma_f64 v[180:181], v[168:169], v[140:141], -v[180:181]
	v_mul_f64 v[168:169], v[168:169], v[142:143]
	v_fma_f64 v[186:187], v[170:171], v[140:141], v[168:169]
	v_mul_f64 v[168:169], v[154:155], v[122:123]
	v_add_f64 v[170:171], v[196:197], v[229:230]
	v_fma_f64 v[182:183], v[152:153], v[120:121], -v[168:169]
	v_mul_f64 v[152:153], v[152:153], v[122:123]
	v_add_f64 v[237:238], v[170:171], -v[231:232]
	v_fma_f64 v[188:189], v[154:155], v[120:121], v[152:153]
	v_mul_f64 v[152:153], v[166:167], v[114:115]
	v_fma_f64 v[184:185], v[164:165], v[112:113], -v[152:153]
	v_mul_f64 v[152:153], v[164:165], v[114:115]
	v_fma_f64 v[164:165], v[166:167], v[112:113], v[152:153]
	v_mul_f64 v[152:153], v[150:151], v[110:111]
	v_fma_f64 v[166:167], v[148:149], v[108:109], -v[152:153]
	v_mul_f64 v[148:149], v[148:149], v[110:111]
	v_fma_f64 v[190:191], v[150:151], v[108:109], v[148:149]
	global_load_dwordx4 v[148:151], v[192:193], off offset:3776
	global_load_dwordx4 v[152:155], v[192:193], off offset:3760
	s_waitcnt vmcnt(0)
	v_mul_f64 v[168:169], v[174:175], v[154:155]
	v_fma_f64 v[192:193], v[172:173], v[152:153], -v[168:169]
	v_mul_f64 v[168:169], v[172:173], v[154:155]
	v_fma_f64 v[172:173], v[174:175], v[152:153], v[168:169]
	v_mul_f64 v[168:169], v[178:179], v[150:151]
	v_fma_f64 v[174:175], v[176:177], v[148:149], -v[168:169]
	v_mul_f64 v[168:169], v[176:177], v[150:151]
	v_fma_f64 v[176:177], v[178:179], v[148:149], v[168:169]
	v_add_f64 v[168:169], v[194:195], v[227:228]
	v_add_f64 v[178:179], v[194:195], -v[227:228]
	v_add_f64 v[227:228], v[196:197], -v[229:230]
	v_add_f64 v[194:195], v[198:199], v[223:224]
	v_add_f64 v[196:197], v[200:201], v[225:226]
	v_add_f64 v[223:224], v[198:199], -v[223:224]
	v_add_f64 v[225:226], v[200:201], -v[225:226]
	v_add_f64 v[229:230], v[202:203], v[206:207]
	v_add_f64 v[198:199], v[206:207], -v[202:203]
	v_add_f64 v[202:203], v[210:211], -v[204:205]
	v_add_f64 v[210:211], v[194:195], v[168:169]
	v_add_f64 v[233:234], v[196:197], v[170:171]
	v_add_f64 v[206:207], v[194:195], -v[168:169]
	v_add_f64 v[200:201], v[196:197], -v[170:171]
	v_add_f64 v[235:236], v[168:169], -v[229:230]
	v_add_f64 v[239:240], v[229:230], -v[194:195]
	v_add_f64 v[241:242], v[231:232], -v[196:197]
	v_add_f64 v[168:169], v[198:199], v[223:224]
	v_add_f64 v[170:171], v[202:203], v[225:226]
	v_add_f64 v[243:244], v[198:199], -v[223:224]
	v_add_f64 v[245:246], v[202:203], -v[225:226]
	;; [unrolled: 1-line block ×6, first 2 shown]
	v_add_f64 v[210:211], v[229:230], v[210:211]
	v_add_f64 v[223:224], v[231:232], v[233:234]
	;; [unrolled: 1-line block ×4, first 2 shown]
	v_mul_f64 v[225:226], v[239:240], s[16:17]
	v_mul_f64 v[227:228], v[241:242], s[16:17]
	;; [unrolled: 1-line block ×4, first 2 shown]
	v_add_f64 v[168:169], v[160:161], v[210:211]
	v_add_f64 v[170:171], v[162:163], v[223:224]
	v_mul_f64 v[160:161], v[235:236], s[14:15]
	v_mul_f64 v[162:163], v[237:238], s[14:15]
	;; [unrolled: 1-line block ×4, first 2 shown]
	v_fma_f64 v[225:226], v[206:207], s[24:25], -v[225:226]
	v_fma_f64 v[227:228], v[200:201], s[24:25], -v[227:228]
	v_fma_f64 v[210:211], v[210:211], s[22:23], v[168:169]
	v_fma_f64 v[223:224], v[223:224], s[22:23], v[170:171]
	;; [unrolled: 1-line block ×4, first 2 shown]
	v_fma_f64 v[160:161], v[206:207], s[26:27], -v[160:161]
	v_fma_f64 v[162:163], v[200:201], s[26:27], -v[162:163]
	v_fma_f64 v[200:201], v[196:197], s[30:31], v[229:230]
	v_fma_f64 v[206:207], v[198:199], s[30:31], v[231:232]
	v_fma_f64 v[202:203], v[202:203], s[18:19], -v[229:230]
	v_fma_f64 v[204:205], v[204:205], s[18:19], -v[231:232]
	v_fma_f64 v[196:197], v[196:197], s[34:35], -v[233:234]
	v_fma_f64 v[198:199], v[198:199], s[34:35], -v[235:236]
	v_add_f64 v[235:236], v[237:238], v[210:211]
	v_add_f64 v[237:238], v[239:240], v[223:224]
	v_add_f64 v[229:230], v[225:226], v[210:211]
	v_add_f64 v[231:232], v[227:228], v[223:224]
	v_add_f64 v[160:161], v[160:161], v[210:211]
	v_add_f64 v[162:163], v[162:163], v[223:224]
	v_fma_f64 v[210:211], v[194:195], s[28:29], v[200:201]
	v_fma_f64 v[239:240], v[178:179], s[28:29], v[206:207]
	;; [unrolled: 1-line block ×6, first 2 shown]
	v_add_f64 v[202:203], v[237:238], -v[210:211]
	v_add_f64 v[200:201], v[239:240], v[235:236]
	v_add_f64 v[225:226], v[233:234], v[231:232]
	v_add_f64 v[223:224], v[229:230], -v[227:228]
	v_add_f64 v[206:207], v[162:163], -v[194:195]
	v_add_f64 v[204:205], v[178:179], v[160:161]
	v_add_f64 v[227:228], v[227:228], v[229:230]
	v_add_f64 v[229:230], v[231:232], -v[233:234]
	v_add_f64 v[231:232], v[160:161], -v[178:179]
	v_add_f64 v[233:234], v[194:195], v[162:163]
	v_add_f64 v[160:161], v[180:181], v[174:175]
	;; [unrolled: 1-line block ×3, first 2 shown]
	v_add_f64 v[174:175], v[180:181], -v[174:175]
	v_add_f64 v[178:179], v[182:183], v[192:193]
	v_add_f64 v[180:181], v[188:189], v[172:173]
	v_add_f64 v[176:177], v[186:187], -v[176:177]
	v_add_f64 v[182:183], v[182:183], -v[192:193]
	;; [unrolled: 1-line block ×3, first 2 shown]
	v_add_f64 v[186:187], v[184:185], v[166:167]
	v_add_f64 v[188:189], v[164:165], v[190:191]
	v_add_f64 v[166:167], v[166:167], -v[184:185]
	v_add_f64 v[164:165], v[190:191], -v[164:165]
	v_add_f64 v[184:185], v[178:179], v[160:161]
	v_add_f64 v[190:191], v[180:181], v[162:163]
	v_add_f64 v[235:236], v[235:236], -v[239:240]
	v_add_f64 v[237:238], v[210:211], v[237:238]
	v_add_f64 v[192:193], v[178:179], -v[160:161]
	v_add_f64 v[194:195], v[180:181], -v[162:163]
	;; [unrolled: 1-line block ×6, first 2 shown]
	v_add_f64 v[196:197], v[166:167], v[182:183]
	v_add_f64 v[198:199], v[164:165], v[172:173]
	v_add_f64 v[210:211], v[166:167], -v[182:183]
	v_add_f64 v[239:240], v[164:165], -v[172:173]
	;; [unrolled: 1-line block ×4, first 2 shown]
	v_add_f64 v[184:185], v[186:187], v[184:185]
	v_add_f64 v[186:187], v[188:189], v[190:191]
	v_add_f64 v[166:167], v[174:175], -v[166:167]
	v_add_f64 v[164:165], v[176:177], -v[164:165]
	v_add_f64 v[196:197], v[196:197], v[174:175]
	v_add_f64 v[243:244], v[198:199], v[176:177]
	v_mul_f64 v[176:177], v[210:211], s[20:21]
	v_mul_f64 v[188:189], v[239:240], s[20:21]
	v_add_f64 v[172:173], v[156:157], v[184:185]
	v_add_f64 v[174:175], v[158:159], v[186:187]
	v_mul_f64 v[156:157], v[160:161], s[14:15]
	v_mul_f64 v[158:159], v[162:163], s[14:15]
	;; [unrolled: 1-line block ×6, first 2 shown]
	v_fma_f64 v[184:185], v[184:185], s[22:23], v[172:173]
	v_fma_f64 v[186:187], v[186:187], s[22:23], v[174:175]
	;; [unrolled: 1-line block ×4, first 2 shown]
	v_fma_f64 v[160:161], v[192:193], s[24:25], -v[160:161]
	v_fma_f64 v[162:163], v[194:195], s[24:25], -v[162:163]
	;; [unrolled: 1-line block ×4, first 2 shown]
	v_fma_f64 v[194:195], v[166:167], s[30:31], v[176:177]
	v_fma_f64 v[210:211], v[164:165], s[30:31], v[188:189]
	v_fma_f64 v[239:240], v[182:183], s[18:19], -v[176:177]
	v_fma_f64 v[241:242], v[241:242], s[18:19], -v[188:189]
	;; [unrolled: 1-line block ×4, first 2 shown]
	v_add_f64 v[176:177], v[178:179], v[184:185]
	v_add_f64 v[182:183], v[180:181], v[186:187]
	;; [unrolled: 1-line block ×6, first 2 shown]
	v_fma_f64 v[186:187], v[196:197], s[28:29], v[194:195]
	v_fma_f64 v[184:185], v[243:244], s[28:29], v[210:211]
	;; [unrolled: 1-line block ×6, first 2 shown]
	ds_write_b128 v213, v[168:171]
	ds_write_b128 v213, v[200:203] offset:3872
	ds_write_b128 v213, v[204:207] offset:7744
	;; [unrolled: 1-line block ×6, first 2 shown]
	v_add_f64 v[162:163], v[186:187], v[182:183]
	v_add_f64 v[160:161], v[176:177], -v[184:185]
	v_add_f64 v[166:167], v[192:193], -v[194:195]
	v_add_f64 v[164:165], v[190:191], v[178:179]
	v_add_f64 v[158:159], v[198:199], v[188:189]
	v_add_f64 v[156:157], v[180:181], -v[196:197]
	s_and_saveexec_b64 s[14:15], s[2:3]
	s_cbranch_execz .LBB0_9
; %bb.8:
	v_add_f64 v[170:171], v[194:195], v[192:193]
	v_add_f64 v[194:195], v[182:183], -v[186:187]
	v_add_f64 v[192:193], v[184:185], v[176:177]
	v_add_f64 v[188:189], v[188:189], -v[198:199]
	;; [unrolled: 2-line block ×3, first 2 shown]
	ds_write_b128 v213, v[172:175] offset:2464
	ds_write_b128 v213, v[192:195] offset:6336
	;; [unrolled: 1-line block ×7, first 2 shown]
.LBB0_9:
	s_or_b64 exec, exec, s[14:15]
	v_mov_b32_e32 v0, s13
	v_addc_co_u32_e64 v168, vcc, 0, v0, s[6:7]
	s_movk_i32 s6, 0x69e0
	v_add_co_u32_e32 v181, vcc, s6, v209
	v_addc_co_u32_e32 v182, vcc, 0, v168, vcc
	s_movk_i32 s6, 0x6000
	v_add_co_u32_e32 v173, vcc, s6, v209
	v_addc_co_u32_e32 v174, vcc, 0, v168, vcc
	s_waitcnt lgkmcnt(0)
	s_barrier
	global_load_dwordx4 v[173:176], v[173:174], off offset:2528
	ds_read_b128 v[169:172], v213
	s_movk_i32 s6, 0x7000
	s_mov_b32 s14, 0xf8bb580b
	s_mov_b32 s12, 0x43842ef
	;; [unrolled: 1-line block ×26, first 2 shown]
	s_waitcnt vmcnt(0) lgkmcnt(0)
	v_mul_f64 v[177:178], v[171:172], v[175:176]
	v_fma_f64 v[177:178], v[169:170], v[173:174], -v[177:178]
	v_mul_f64 v[169:170], v[169:170], v[175:176]
	v_fma_f64 v[179:180], v[171:172], v[173:174], v[169:170]
	global_load_dwordx4 v[173:176], v[181:182], off offset:2464
	ds_read_b128 v[169:172], v213 offset:2464
	ds_write_b128 v213, v[177:180]
	s_waitcnt vmcnt(0) lgkmcnt(1)
	v_mul_f64 v[177:178], v[171:172], v[175:176]
	v_fma_f64 v[177:178], v[169:170], v[173:174], -v[177:178]
	v_mul_f64 v[169:170], v[169:170], v[175:176]
	v_fma_f64 v[179:180], v[171:172], v[173:174], v[169:170]
	v_add_co_u32_e32 v173, vcc, s6, v209
	v_addc_co_u32_e32 v174, vcc, 0, v168, vcc
	global_load_dwordx4 v[173:176], v[173:174], off offset:3360
	ds_read_b128 v[169:172], v213 offset:4928
	s_mov_b32 s6, 0x8000
	ds_write_b128 v213, v[177:180] offset:2464
	s_waitcnt vmcnt(0) lgkmcnt(1)
	v_mul_f64 v[177:178], v[171:172], v[175:176]
	v_fma_f64 v[177:178], v[169:170], v[173:174], -v[177:178]
	v_mul_f64 v[169:170], v[169:170], v[175:176]
	v_fma_f64 v[179:180], v[171:172], v[173:174], v[169:170]
	v_add_co_u32_e32 v173, vcc, s6, v209
	v_addc_co_u32_e32 v174, vcc, 0, v168, vcc
	global_load_dwordx4 v[173:176], v[173:174], off offset:1728
	ds_read_b128 v[169:172], v213 offset:7392
	s_mov_b32 s6, 0x9000
	ds_write_b128 v213, v[177:180] offset:4928
	v_add_co_u32_e32 v181, vcc, s6, v209
	v_addc_co_u32_e32 v182, vcc, 0, v168, vcc
	s_mov_b32 s6, 0xa000
	s_waitcnt vmcnt(0) lgkmcnt(1)
	v_mul_f64 v[177:178], v[171:172], v[175:176]
	v_fma_f64 v[177:178], v[169:170], v[173:174], -v[177:178]
	v_mul_f64 v[169:170], v[169:170], v[175:176]
	v_fma_f64 v[179:180], v[171:172], v[173:174], v[169:170]
	global_load_dwordx4 v[173:176], v[181:182], off offset:96
	ds_read_b128 v[169:172], v213 offset:9856
	ds_write_b128 v213, v[177:180] offset:7392
	s_waitcnt vmcnt(0) lgkmcnt(1)
	v_mul_f64 v[177:178], v[171:172], v[175:176]
	v_fma_f64 v[177:178], v[169:170], v[173:174], -v[177:178]
	v_mul_f64 v[169:170], v[169:170], v[175:176]
	v_fma_f64 v[179:180], v[171:172], v[173:174], v[169:170]
	global_load_dwordx4 v[173:176], v[181:182], off offset:2560
	ds_read_b128 v[169:172], v213 offset:12320
	v_add_co_u32_e32 v181, vcc, s6, v209
	v_addc_co_u32_e32 v182, vcc, 0, v168, vcc
	s_mov_b32 s6, 0xb000
	ds_write_b128 v213, v[177:180] offset:9856
	s_waitcnt vmcnt(0) lgkmcnt(1)
	v_mul_f64 v[177:178], v[171:172], v[175:176]
	v_fma_f64 v[177:178], v[169:170], v[173:174], -v[177:178]
	v_mul_f64 v[169:170], v[169:170], v[175:176]
	v_fma_f64 v[179:180], v[171:172], v[173:174], v[169:170]
	global_load_dwordx4 v[173:176], v[181:182], off offset:928
	ds_read_b128 v[169:172], v213 offset:14784
	ds_write_b128 v213, v[177:180] offset:12320
	s_waitcnt vmcnt(0) lgkmcnt(1)
	v_mul_f64 v[177:178], v[171:172], v[175:176]
	v_fma_f64 v[177:178], v[169:170], v[173:174], -v[177:178]
	v_mul_f64 v[169:170], v[169:170], v[175:176]
	v_fma_f64 v[179:180], v[171:172], v[173:174], v[169:170]
	global_load_dwordx4 v[173:176], v[181:182], off offset:3392
	ds_read_b128 v[169:172], v213 offset:17248
	ds_write_b128 v213, v[177:180] offset:14784
	s_waitcnt vmcnt(0) lgkmcnt(1)
	v_mul_f64 v[177:178], v[171:172], v[175:176]
	v_fma_f64 v[177:178], v[169:170], v[173:174], -v[177:178]
	v_mul_f64 v[169:170], v[169:170], v[175:176]
	v_fma_f64 v[179:180], v[171:172], v[173:174], v[169:170]
	v_add_co_u32_e32 v173, vcc, s6, v209
	v_addc_co_u32_e32 v174, vcc, 0, v168, vcc
	global_load_dwordx4 v[173:176], v[173:174], off offset:1760
	ds_read_b128 v[169:172], v213 offset:19712
	s_mov_b32 s6, 0xc000
	ds_write_b128 v213, v[177:180] offset:17248
	v_add_co_u32_e32 v181, vcc, s6, v209
	v_addc_co_u32_e32 v182, vcc, 0, v168, vcc
	s_mov_b32 s6, 0x8eee2c13
	s_mov_b32 s7, 0xbfed1bb4
	;; [unrolled: 1-line block ×3, first 2 shown]
	s_waitcnt vmcnt(0) lgkmcnt(1)
	v_mul_f64 v[177:178], v[171:172], v[175:176]
	v_fma_f64 v[177:178], v[169:170], v[173:174], -v[177:178]
	v_mul_f64 v[169:170], v[169:170], v[175:176]
	v_fma_f64 v[179:180], v[171:172], v[173:174], v[169:170]
	global_load_dwordx4 v[173:176], v[181:182], off offset:128
	ds_read_b128 v[169:172], v213 offset:22176
	ds_write_b128 v213, v[177:180] offset:19712
	s_waitcnt vmcnt(0) lgkmcnt(1)
	v_mul_f64 v[177:178], v[171:172], v[175:176]
	v_fma_f64 v[177:178], v[169:170], v[173:174], -v[177:178]
	v_mul_f64 v[168:169], v[169:170], v[175:176]
	v_fma_f64 v[179:180], v[171:172], v[173:174], v[168:169]
	global_load_dwordx4 v[172:175], v[181:182], off offset:2592
	ds_read_b128 v[168:171], v213 offset:24640
	ds_write_b128 v213, v[177:180] offset:22176
	s_waitcnt vmcnt(0) lgkmcnt(1)
	v_mul_f64 v[176:177], v[170:171], v[174:175]
	v_fma_f64 v[176:177], v[168:169], v[172:173], -v[176:177]
	v_mul_f64 v[168:169], v[168:169], v[174:175]
	v_fma_f64 v[178:179], v[170:171], v[172:173], v[168:169]
	ds_write_b128 v213, v[176:179] offset:24640
	s_waitcnt lgkmcnt(0)
	s_barrier
	ds_read_b128 v[204:207], v213
	ds_read_b128 v[223:226], v213 offset:2464
	ds_read_b128 v[196:199], v213 offset:4928
	;; [unrolled: 1-line block ×10, first 2 shown]
	s_waitcnt lgkmcnt(9)
	v_add_f64 v[168:169], v[204:205], v[223:224]
	v_add_f64 v[170:171], v[206:207], v[225:226]
	s_waitcnt lgkmcnt(0)
	s_barrier
	v_add_f64 v[231:232], v[225:226], v[229:230]
	v_add_f64 v[225:226], v[225:226], -v[229:230]
	v_add_f64 v[209:210], v[223:224], v[227:228]
	v_add_f64 v[223:224], v[223:224], -v[227:228]
	v_add_f64 v[168:169], v[168:169], v[196:197]
	v_add_f64 v[170:171], v[170:171], v[198:199]
	v_mul_f64 v[233:234], v[231:232], s[18:19]
	v_mul_f64 v[237:238], v[225:226], s[6:7]
	;; [unrolled: 1-line block ×4, first 2 shown]
	v_add_f64 v[168:169], v[168:169], v[188:189]
	v_add_f64 v[170:171], v[170:171], v[190:191]
	v_mul_f64 v[241:242], v[231:232], s[16:17]
	v_mul_f64 v[249:250], v[231:232], s[20:21]
	;; [unrolled: 1-line block ×3, first 2 shown]
	v_fma_f64 v[239:240], v[209:210], s[16:17], v[237:238]
	v_fma_f64 v[237:238], v[209:210], s[16:17], -v[237:238]
	v_fma_f64 v[247:248], v[209:210], s[20:21], v[245:246]
	v_add_f64 v[168:169], v[168:169], v[180:181]
	v_add_f64 v[170:171], v[170:171], v[182:183]
	v_fma_f64 v[245:246], v[209:210], s[20:21], -v[245:246]
	v_fma_f64 v[215:216], v[209:210], s[30:31], v[253:254]
	v_fma_f64 v[253:254], v[209:210], s[30:31], -v[253:254]
	v_mul_f64 v[231:232], v[231:232], s[38:39]
	v_fma_f64 v[235:236], v[223:224], s[22:23], v[233:234]
	v_fma_f64 v[233:234], v[223:224], s[14:15], v[233:234]
	v_add_f64 v[168:169], v[168:169], v[172:173]
	v_add_f64 v[170:171], v[170:171], v[174:175]
	;; [unrolled: 1-line block ×3, first 2 shown]
	v_fma_f64 v[243:244], v[223:224], s[26:27], v[241:242]
	v_add_f64 v[237:238], v[204:205], v[237:238]
	v_fma_f64 v[241:242], v[223:224], s[6:7], v[241:242]
	v_add_f64 v[247:248], v[204:205], v[247:248]
	;; [unrolled: 2-line block ×3, first 2 shown]
	v_add_f64 v[170:171], v[170:171], v[178:179]
	v_add_f64 v[245:246], v[204:205], v[245:246]
	v_fma_f64 v[249:250], v[223:224], s[12:13], v[249:250]
	v_add_f64 v[215:216], v[204:205], v[215:216]
	v_fma_f64 v[219:220], v[223:224], s[34:35], v[217:218]
	;; [unrolled: 2-line block ×3, first 2 shown]
	v_add_f64 v[168:169], v[168:169], v[184:185]
	v_add_f64 v[170:171], v[170:171], v[186:187]
	v_fma_f64 v[0:1], v[223:224], s[40:41], v[231:232]
	v_add_f64 v[235:236], v[206:207], v[235:236]
	v_add_f64 v[233:234], v[206:207], v[233:234]
	;; [unrolled: 1-line block ×14, first 2 shown]
	v_mul_f64 v[227:228], v[225:226], s[14:15]
	v_mul_f64 v[225:226], v[225:226], s[36:37]
	v_add_f64 v[170:171], v[170:171], v[229:230]
	v_fma_f64 v[229:230], v[209:210], s[18:19], v[227:228]
	v_fma_f64 v[227:228], v[209:210], s[18:19], -v[227:228]
	v_fma_f64 v[211:212], v[209:210], s[38:39], v[225:226]
	v_fma_f64 v[2:3], v[209:210], s[38:39], -v[225:226]
	v_add_f64 v[209:210], v[198:199], v[202:203]
	v_add_f64 v[198:199], v[198:199], -v[202:203]
	v_add_f64 v[229:230], v[204:205], v[229:230]
	v_add_f64 v[227:228], v[204:205], v[227:228]
	;; [unrolled: 1-line block ×4, first 2 shown]
	v_fma_f64 v[204:205], v[223:224], s[36:37], v[231:232]
	v_mul_f64 v[223:224], v[209:210], s[16:17]
	v_mul_f64 v[231:232], v[209:210], s[30:31]
	v_add_f64 v[204:205], v[206:207], v[204:205]
	v_add_f64 v[206:207], v[196:197], v[200:201]
	v_add_f64 v[196:197], v[196:197], -v[200:201]
	v_mul_f64 v[200:201], v[198:199], s[6:7]
	v_fma_f64 v[225:226], v[196:197], s[26:27], v[223:224]
	v_fma_f64 v[202:203], v[206:207], s[16:17], v[200:201]
	v_fma_f64 v[200:201], v[206:207], s[16:17], -v[200:201]
	v_fma_f64 v[223:224], v[196:197], s[6:7], v[223:224]
	v_add_f64 v[225:226], v[225:226], v[235:236]
	v_add_f64 v[202:203], v[202:203], v[229:230]
	;; [unrolled: 1-line block ×3, first 2 shown]
	v_mul_f64 v[227:228], v[198:199], s[28:29]
	v_add_f64 v[223:224], v[223:224], v[233:234]
	v_fma_f64 v[233:234], v[196:197], s[34:35], v[231:232]
	v_mul_f64 v[235:236], v[198:199], s[40:41]
	v_fma_f64 v[231:232], v[196:197], s[28:29], v[231:232]
	v_fma_f64 v[229:230], v[206:207], s[30:31], v[227:228]
	v_fma_f64 v[227:228], v[206:207], s[30:31], -v[227:228]
	v_add_f64 v[233:234], v[233:234], v[243:244]
	v_mul_f64 v[243:244], v[198:199], s[24:25]
	v_mul_f64 v[198:199], v[198:199], s[22:23]
	v_add_f64 v[231:232], v[231:232], v[241:242]
	v_add_f64 v[229:230], v[229:230], v[239:240]
	;; [unrolled: 1-line block ×3, first 2 shown]
	v_fma_f64 v[237:238], v[206:207], s[38:39], v[235:236]
	v_fma_f64 v[235:236], v[206:207], s[38:39], -v[235:236]
	v_mul_f64 v[239:240], v[209:210], s[38:39]
	v_add_f64 v[237:238], v[237:238], v[247:248]
	v_add_f64 v[235:236], v[235:236], v[245:246]
	v_fma_f64 v[245:246], v[206:207], s[20:21], v[243:244]
	v_fma_f64 v[241:242], v[196:197], s[36:37], v[239:240]
	;; [unrolled: 1-line block ×3, first 2 shown]
	v_fma_f64 v[243:244], v[206:207], s[20:21], -v[243:244]
	v_add_f64 v[215:216], v[245:246], v[215:216]
	v_mul_f64 v[245:246], v[209:210], s[20:21]
	v_mul_f64 v[209:210], v[209:210], s[18:19]
	v_add_f64 v[239:240], v[239:240], v[249:250]
	v_add_f64 v[243:244], v[243:244], v[253:254]
	;; [unrolled: 1-line block ×3, first 2 shown]
	v_fma_f64 v[247:248], v[196:197], s[12:13], v[245:246]
	v_fma_f64 v[245:246], v[196:197], s[24:25], v[245:246]
	v_add_f64 v[219:220], v[247:248], v[219:220]
	v_add_f64 v[217:218], v[245:246], v[217:218]
	v_fma_f64 v[245:246], v[206:207], s[18:19], v[198:199]
	v_fma_f64 v[198:199], v[206:207], s[18:19], -v[198:199]
	v_add_f64 v[211:212], v[245:246], v[211:212]
	v_fma_f64 v[245:246], v[196:197], s[14:15], v[209:210]
	v_fma_f64 v[196:197], v[196:197], s[22:23], v[209:210]
	v_add_f64 v[2:3], v[198:199], v[2:3]
	v_add_f64 v[198:199], v[188:189], v[192:193]
	v_add_f64 v[188:189], v[188:189], -v[192:193]
	v_add_f64 v[0:1], v[245:246], v[0:1]
	v_add_f64 v[196:197], v[196:197], v[204:205]
	;; [unrolled: 1-line block ×3, first 2 shown]
	v_add_f64 v[190:191], v[190:191], -v[194:195]
	v_mul_f64 v[192:193], v[190:191], s[12:13]
	v_fma_f64 v[194:195], v[198:199], s[20:21], v[192:193]
	v_fma_f64 v[192:193], v[198:199], s[20:21], -v[192:193]
	v_add_f64 v[194:195], v[194:195], v[202:203]
	v_mul_f64 v[202:203], v[204:205], s[20:21]
	v_add_f64 v[192:193], v[192:193], v[200:201]
	v_fma_f64 v[206:207], v[188:189], s[24:25], v[202:203]
	v_fma_f64 v[200:201], v[188:189], s[12:13], v[202:203]
	v_mul_f64 v[202:203], v[190:191], s[40:41]
	v_add_f64 v[206:207], v[206:207], v[225:226]
	v_add_f64 v[200:201], v[200:201], v[223:224]
	v_fma_f64 v[209:210], v[198:199], s[38:39], v[202:203]
	v_fma_f64 v[202:203], v[198:199], s[38:39], -v[202:203]
	v_mul_f64 v[223:224], v[204:205], s[38:39]
	v_add_f64 v[209:210], v[209:210], v[229:230]
	v_add_f64 v[202:203], v[202:203], v[227:228]
	v_mul_f64 v[227:228], v[190:191], s[26:27]
	v_fma_f64 v[225:226], v[188:189], s[36:37], v[223:224]
	v_fma_f64 v[223:224], v[188:189], s[40:41], v[223:224]
	;; [unrolled: 1-line block ×3, first 2 shown]
	v_fma_f64 v[227:228], v[198:199], s[16:17], -v[227:228]
	v_add_f64 v[223:224], v[223:224], v[231:232]
	v_mul_f64 v[231:232], v[204:205], s[16:17]
	v_add_f64 v[225:226], v[225:226], v[233:234]
	v_add_f64 v[229:230], v[229:230], v[237:238]
	;; [unrolled: 1-line block ×3, first 2 shown]
	v_mul_f64 v[235:236], v[190:191], s[14:15]
	v_fma_f64 v[233:234], v[188:189], s[6:7], v[231:232]
	v_fma_f64 v[231:232], v[188:189], s[26:27], v[231:232]
	v_mul_f64 v[190:191], v[190:191], s[28:29]
	v_fma_f64 v[237:238], v[198:199], s[18:19], v[235:236]
	v_fma_f64 v[235:236], v[198:199], s[18:19], -v[235:236]
	v_add_f64 v[231:232], v[231:232], v[239:240]
	v_add_f64 v[233:234], v[233:234], v[241:242]
	v_add_f64 v[215:216], v[237:238], v[215:216]
	v_mul_f64 v[237:238], v[204:205], s[18:19]
	v_mul_f64 v[204:205], v[204:205], s[30:31]
	v_add_f64 v[235:236], v[235:236], v[243:244]
	v_fma_f64 v[239:240], v[188:189], s[22:23], v[237:238]
	v_fma_f64 v[237:238], v[188:189], s[14:15], v[237:238]
	v_add_f64 v[219:220], v[239:240], v[219:220]
	v_add_f64 v[217:218], v[237:238], v[217:218]
	v_fma_f64 v[237:238], v[198:199], s[30:31], v[190:191]
	v_fma_f64 v[190:191], v[198:199], s[30:31], -v[190:191]
	v_add_f64 v[211:212], v[237:238], v[211:212]
	v_fma_f64 v[237:238], v[188:189], s[34:35], v[204:205]
	v_fma_f64 v[188:189], v[188:189], s[28:29], v[204:205]
	v_add_f64 v[2:3], v[190:191], v[2:3]
	v_add_f64 v[190:191], v[180:181], v[184:185]
	v_add_f64 v[180:181], v[180:181], -v[184:185]
	v_add_f64 v[0:1], v[237:238], v[0:1]
	v_add_f64 v[188:189], v[188:189], v[196:197]
	;; [unrolled: 1-line block ×3, first 2 shown]
	v_add_f64 v[182:183], v[182:183], -v[186:187]
	v_add_f64 v[237:238], v[174:175], -v[178:179]
	v_mul_f64 v[204:205], v[196:197], s[20:21]
	v_mul_f64 v[184:185], v[182:183], s[28:29]
	v_fma_f64 v[186:187], v[190:191], s[30:31], v[184:185]
	v_fma_f64 v[184:185], v[190:191], s[30:31], -v[184:185]
	v_add_f64 v[186:187], v[186:187], v[194:195]
	v_mul_f64 v[194:195], v[196:197], s[30:31]
	v_add_f64 v[184:185], v[184:185], v[192:193]
	v_fma_f64 v[198:199], v[180:181], s[34:35], v[194:195]
	v_fma_f64 v[192:193], v[180:181], s[28:29], v[194:195]
	v_mul_f64 v[194:195], v[182:183], s[24:25]
	v_add_f64 v[198:199], v[198:199], v[206:207]
	v_add_f64 v[192:193], v[192:193], v[200:201]
	v_fma_f64 v[200:201], v[190:191], s[20:21], v[194:195]
	v_fma_f64 v[194:195], v[190:191], s[20:21], -v[194:195]
	v_fma_f64 v[206:207], v[180:181], s[12:13], v[204:205]
	v_add_f64 v[200:201], v[200:201], v[209:210]
	v_add_f64 v[194:195], v[194:195], v[202:203]
	v_fma_f64 v[202:203], v[180:181], s[24:25], v[204:205]
	v_mul_f64 v[204:205], v[182:183], s[14:15]
	v_add_f64 v[206:207], v[206:207], v[225:226]
	v_add_f64 v[202:203], v[202:203], v[223:224]
	v_fma_f64 v[209:210], v[190:191], s[18:19], v[204:205]
	v_fma_f64 v[204:205], v[190:191], s[18:19], -v[204:205]
	v_mul_f64 v[223:224], v[196:197], s[18:19]
	v_add_f64 v[209:210], v[209:210], v[229:230]
	v_add_f64 v[204:205], v[204:205], v[227:228]
	v_mul_f64 v[227:228], v[182:183], s[36:37]
	v_fma_f64 v[225:226], v[180:181], s[22:23], v[223:224]
	v_fma_f64 v[223:224], v[180:181], s[14:15], v[223:224]
	v_mul_f64 v[182:183], v[182:183], s[26:27]
	v_fma_f64 v[229:230], v[190:191], s[38:39], v[227:228]
	v_fma_f64 v[227:228], v[190:191], s[38:39], -v[227:228]
	v_add_f64 v[223:224], v[223:224], v[231:232]
	v_add_f64 v[225:226], v[225:226], v[233:234]
	;; [unrolled: 1-line block ×4, first 2 shown]
	v_mul_f64 v[229:230], v[196:197], s[38:39]
	v_add_f64 v[227:228], v[227:228], v[235:236]
	v_add_f64 v[235:236], v[172:173], -v[176:177]
	v_mul_f64 v[196:197], v[196:197], s[16:17]
	v_fma_f64 v[231:232], v[180:181], s[40:41], v[229:230]
	v_fma_f64 v[229:230], v[180:181], s[36:37], v[229:230]
	v_add_f64 v[219:220], v[231:232], v[219:220]
	v_add_f64 v[231:232], v[172:173], v[176:177]
	v_mul_f64 v[172:173], v[237:238], s[36:37]
	v_add_f64 v[217:218], v[229:230], v[217:218]
	v_fma_f64 v[229:230], v[190:191], s[16:17], v[182:183]
	v_fma_f64 v[182:183], v[190:191], s[16:17], -v[182:183]
	v_fma_f64 v[174:175], v[231:232], s[38:39], v[172:173]
	v_fma_f64 v[172:173], v[231:232], s[38:39], -v[172:173]
	v_add_f64 v[211:212], v[229:230], v[211:212]
	v_fma_f64 v[229:230], v[180:181], s[6:7], v[196:197]
	v_fma_f64 v[180:181], v[180:181], s[26:27], v[196:197]
	v_add_f64 v[2:3], v[182:183], v[2:3]
	v_add_f64 v[176:177], v[174:175], v[186:187]
	v_mul_f64 v[174:175], v[233:234], s[38:39]
	v_add_f64 v[172:173], v[172:173], v[184:185]
	v_add_f64 v[0:1], v[229:230], v[0:1]
	;; [unrolled: 1-line block ×3, first 2 shown]
	v_mul_f64 v[184:185], v[237:238], s[22:23]
	v_mul_f64 v[186:187], v[233:234], s[18:19]
	v_fma_f64 v[178:179], v[235:236], s[40:41], v[174:175]
	v_fma_f64 v[174:175], v[235:236], s[36:37], v[174:175]
	;; [unrolled: 1-line block ×4, first 2 shown]
	v_fma_f64 v[184:185], v[231:232], s[18:19], -v[184:185]
	v_fma_f64 v[186:187], v[235:236], s[22:23], v[186:187]
	v_add_f64 v[178:179], v[178:179], v[198:199]
	v_add_f64 v[174:175], v[174:175], v[192:193]
	v_mul_f64 v[192:193], v[237:238], s[28:29]
	v_add_f64 v[180:181], v[180:181], v[200:201]
	v_add_f64 v[182:183], v[182:183], v[206:207]
	v_add_f64 v[184:185], v[184:185], v[194:195]
	v_mul_f64 v[194:195], v[233:234], s[30:31]
	v_add_f64 v[186:187], v[186:187], v[202:203]
	v_mul_f64 v[200:201], v[237:238], s[26:27]
	v_fma_f64 v[188:189], v[231:232], s[30:31], v[192:193]
	v_fma_f64 v[192:193], v[231:232], s[30:31], -v[192:193]
	v_mul_f64 v[202:203], v[233:234], s[16:17]
	v_fma_f64 v[190:191], v[235:236], s[34:35], v[194:195]
	v_fma_f64 v[194:195], v[235:236], s[28:29], v[194:195]
	;; [unrolled: 1-line block ×3, first 2 shown]
	v_add_f64 v[188:189], v[188:189], v[209:210]
	v_mul_f64 v[209:210], v[237:238], s[12:13]
	v_add_f64 v[192:193], v[192:193], v[204:205]
	v_fma_f64 v[198:199], v[235:236], s[6:7], v[202:203]
	v_fma_f64 v[200:201], v[231:232], s[16:17], -v[200:201]
	v_fma_f64 v[202:203], v[235:236], s[26:27], v[202:203]
	v_add_f64 v[194:195], v[194:195], v[223:224]
	v_add_f64 v[190:191], v[190:191], v[225:226]
	v_add_f64 v[196:197], v[196:197], v[215:216]
	v_fma_f64 v[204:205], v[231:232], s[20:21], v[209:210]
	v_add_f64 v[198:199], v[198:199], v[219:220]
	v_add_f64 v[200:201], v[200:201], v[227:228]
	;; [unrolled: 1-line block ×4, first 2 shown]
	v_mul_f64 v[211:212], v[233:234], s[20:21]
	v_fma_f64 v[206:207], v[235:236], s[24:25], v[211:212]
	v_add_f64 v[206:207], v[206:207], v[0:1]
	v_fma_f64 v[0:1], v[231:232], s[20:21], -v[209:210]
	v_add_f64 v[223:224], v[0:1], v[2:3]
	v_fma_f64 v[0:1], v[235:236], s[12:13], v[211:212]
	v_add_f64 v[225:226], v[0:1], v[229:230]
	ds_write_b128 v208, v[168:171]
	ds_write_b128 v208, v[176:179] offset:16
	ds_write_b128 v208, v[180:183] offset:32
	ds_write_b128 v208, v[188:191] offset:48
	ds_write_b128 v208, v[196:199] offset:64
	ds_write_b128 v208, v[204:207] offset:80
	ds_write_b128 v208, v[223:226] offset:96
	ds_write_b128 v208, v[200:203] offset:112
	ds_write_b128 v208, v[192:195] offset:128
	ds_write_b128 v208, v[184:187] offset:144
	ds_write_b128 v208, v[172:175] offset:160
	s_waitcnt lgkmcnt(0)
	s_barrier
	ds_read_b128 v[188:191], v213
	ds_read_b128 v[200:203], v213 offset:13552
	ds_read_b128 v[168:171], v213 offset:2464
	;; [unrolled: 1-line block ×9, first 2 shown]
	s_and_saveexec_b64 s[6:7], s[0:1]
	s_cbranch_execz .LBB0_11
; %bb.10:
	ds_read_b128 v[172:175], v213 offset:12320
	ds_read_b128 v[164:167], v213 offset:25872
.LBB0_11:
	s_or_b64 exec, exec, s[6:7]
	s_waitcnt lgkmcnt(8)
	v_mul_f64 v[0:1], v[62:63], v[202:203]
	v_mul_f64 v[2:3], v[62:63], v[200:201]
	s_waitcnt lgkmcnt(6)
	v_mul_f64 v[62:63], v[66:67], v[206:207]
	v_mul_f64 v[66:67], v[66:67], v[204:205]
	;; [unrolled: 3-line block ×3, first 2 shown]
	s_waitcnt lgkmcnt(0)
	s_barrier
	v_fma_f64 v[0:1], v[60:61], v[200:201], v[0:1]
	v_fma_f64 v[2:3], v[60:61], v[202:203], -v[2:3]
	v_fma_f64 v[60:61], v[64:65], v[204:205], v[62:63]
	v_fma_f64 v[62:63], v[64:65], v[206:207], -v[66:67]
	;; [unrolled: 2-line block ×3, first 2 shown]
	v_mul_f64 v[200:201], v[46:47], v[194:195]
	v_mul_f64 v[46:47], v[46:47], v[192:193]
	;; [unrolled: 1-line block ×4, first 2 shown]
	v_add_f64 v[48:49], v[188:189], -v[0:1]
	v_add_f64 v[50:51], v[190:191], -v[2:3]
	v_mul_f64 v[204:205], v[58:59], v[166:167]
	v_mul_f64 v[58:59], v[58:59], v[164:165]
	v_fma_f64 v[0:1], v[44:45], v[192:193], v[200:201]
	v_fma_f64 v[2:3], v[44:45], v[194:195], -v[46:47]
	v_fma_f64 v[44:45], v[52:53], v[196:197], v[202:203]
	v_fma_f64 v[46:47], v[52:53], v[198:199], -v[54:55]
	v_fma_f64 v[52:53], v[188:189], 2.0, -v[48:49]
	v_fma_f64 v[54:55], v[190:191], 2.0, -v[50:51]
	v_fma_f64 v[192:193], v[56:57], v[164:165], v[204:205]
	v_fma_f64 v[194:195], v[56:57], v[166:167], -v[58:59]
	v_add_f64 v[56:57], v[168:169], -v[60:61]
	ds_write_b128 v221, v[52:55]
	ds_write_b128 v221, v[48:51] offset:176
	v_add_f64 v[60:61], v[176:177], -v[64:65]
	v_add_f64 v[64:65], v[180:181], -v[0:1]
	buffer_load_dword v0, off, s[44:47], 0 offset:32 ; 4-byte Folded Reload
	v_add_f64 v[58:59], v[170:171], -v[62:63]
	v_fma_f64 v[168:169], v[168:169], 2.0, -v[56:57]
	v_add_f64 v[62:63], v[178:179], -v[66:67]
	v_add_f64 v[66:67], v[182:183], -v[2:3]
	;; [unrolled: 1-line block ×3, first 2 shown]
	v_fma_f64 v[176:177], v[176:177], 2.0, -v[60:61]
	v_fma_f64 v[180:181], v[180:181], 2.0, -v[64:65]
	v_add_f64 v[166:167], v[186:187], -v[46:47]
	v_fma_f64 v[170:171], v[170:171], 2.0, -v[58:59]
	v_add_f64 v[44:45], v[172:173], -v[192:193]
	v_fma_f64 v[178:179], v[178:179], 2.0, -v[62:63]
	v_fma_f64 v[182:183], v[182:183], 2.0, -v[66:67]
	;; [unrolled: 1-line block ×3, first 2 shown]
	v_add_f64 v[46:47], v[174:175], -v[194:195]
	s_waitcnt vmcnt(0)
	ds_write_b128 v0, v[168:171]
	ds_write_b128 v0, v[56:59] offset:176
	buffer_load_dword v0, off, s[44:47], 0 offset:40 ; 4-byte Folded Reload
	v_fma_f64 v[186:187], v[186:187], 2.0, -v[166:167]
	s_waitcnt vmcnt(0)
	ds_write_b128 v0, v[176:179]
	ds_write_b128 v0, v[60:63] offset:176
	ds_write_b128 v255, v[180:183]
	ds_write_b128 v255, v[64:67] offset:176
	buffer_load_dword v0, off, s[44:47], 0 offset:36 ; 4-byte Folded Reload
	s_waitcnt vmcnt(0)
	ds_write_b128 v0, v[184:187]
	ds_write_b128 v0, v[164:167] offset:176
	s_and_saveexec_b64 s[6:7], s[0:1]
	s_cbranch_execz .LBB0_13
; %bb.12:
	buffer_load_dword v0, off, s[44:47], 0 offset:24 ; 4-byte Folded Reload
	buffer_load_dword v1, off, s[44:47], 0 offset:28 ; 4-byte Folded Reload
	v_fma_f64 v[50:51], v[174:175], 2.0, -v[46:47]
	v_fma_f64 v[48:49], v[172:173], 2.0, -v[44:45]
	s_waitcnt vmcnt(0)
	v_mad_legacy_u16 v0, v0, 22, v1
	v_lshlrev_b32_e32 v0, 4, v0
	ds_write_b128 v0, v[48:51]
	ds_write_b128 v0, v[44:47] offset:176
.LBB0_13:
	s_or_b64 exec, exec, s[6:7]
	s_waitcnt lgkmcnt(0)
	s_barrier
	ds_read_b128 v[48:51], v213 offset:2464
	ds_read_b128 v[56:59], v213 offset:7392
	;; [unrolled: 1-line block ×3, first 2 shown]
	s_mov_b32 s6, 0x8764f0ba
	s_mov_b32 s0, 0x8eee2c13
	s_waitcnt lgkmcnt(2)
	v_mul_f64 v[0:1], v[106:107], v[50:51]
	v_mul_f64 v[2:3], v[106:107], v[48:49]
	s_waitcnt lgkmcnt(1)
	v_mul_f64 v[64:65], v[82:83], v[58:59]
	v_mul_f64 v[66:67], v[82:83], v[56:57]
	s_mov_b32 s12, 0xd9c712b6
	s_mov_b32 s18, 0x43842ef
	;; [unrolled: 1-line block ×4, first 2 shown]
	v_fma_f64 v[0:1], v[104:105], v[48:49], v[0:1]
	v_fma_f64 v[2:3], v[104:105], v[50:51], -v[2:3]
	ds_read_b128 v[48:51], v213
	s_waitcnt lgkmcnt(1)
	v_mul_f64 v[60:61], v[98:99], v[54:55]
	v_mul_f64 v[62:63], v[98:99], v[52:53]
	v_fma_f64 v[164:165], v[80:81], v[56:57], v[64:65]
	v_fma_f64 v[166:167], v[80:81], v[58:59], -v[66:67]
	s_mov_b32 s28, 0x7f775887
	s_waitcnt lgkmcnt(0)
	v_add_f64 v[82:83], v[48:49], v[0:1]
	v_add_f64 v[104:105], v[50:51], v[2:3]
	s_mov_b32 s34, 0xfd768dbf
	v_fma_f64 v[98:99], v[96:97], v[52:53], v[60:61]
	v_fma_f64 v[96:97], v[96:97], v[54:55], -v[62:63]
	ds_read_b128 v[52:55], v213 offset:9856
	ds_read_b128 v[60:63], v213 offset:12320
	;; [unrolled: 1-line block ×4, first 2 shown]
	s_mov_b32 s36, 0x9bcd5057
	s_mov_b32 s7, 0x3feaeb8c
	s_waitcnt lgkmcnt(3)
	v_mul_f64 v[106:107], v[74:75], v[54:55]
	v_mul_f64 v[74:75], v[74:75], v[52:53]
	v_add_f64 v[80:81], v[82:83], v[98:99]
	v_add_f64 v[82:83], v[104:105], v[96:97]
	s_waitcnt lgkmcnt(2)
	v_mul_f64 v[104:105], v[102:103], v[62:63]
	v_mul_f64 v[102:103], v[102:103], v[60:61]
	s_waitcnt lgkmcnt(1)
	v_mul_f64 v[174:175], v[86:87], v[58:59]
	v_mul_f64 v[86:87], v[86:87], v[56:57]
	v_fma_f64 v[106:107], v[72:73], v[52:53], v[106:107]
	v_fma_f64 v[168:169], v[72:73], v[54:55], -v[74:75]
	v_add_f64 v[170:171], v[80:81], v[164:165]
	v_add_f64 v[172:173], v[82:83], v[166:167]
	v_fma_f64 v[60:61], v[100:101], v[60:61], v[104:105]
	v_fma_f64 v[62:63], v[100:101], v[62:63], -v[102:103]
	ds_read_b128 v[52:55], v213 offset:19712
	ds_read_b128 v[72:75], v213 offset:22176
	;; [unrolled: 1-line block ×3, first 2 shown]
	s_waitcnt lgkmcnt(3)
	v_mul_f64 v[104:105], v[78:79], v[66:67]
	v_mul_f64 v[78:79], v[78:79], v[64:65]
	v_fma_f64 v[56:57], v[84:85], v[56:57], v[174:175]
	v_add_f64 v[100:101], v[170:171], v[106:107]
	v_add_f64 v[102:103], v[172:173], v[168:169]
	v_fma_f64 v[58:59], v[84:85], v[58:59], -v[86:87]
	s_mov_b32 s1, 0xbfed1bb4
	s_mov_b32 s13, 0x3fda9628
	v_fma_f64 v[104:105], v[76:77], v[64:65], v[104:105]
	v_fma_f64 v[76:77], v[76:77], v[66:67], -v[78:79]
	s_waitcnt lgkmcnt(0)
	v_mul_f64 v[78:79], v[94:95], v[82:83]
	v_add_f64 v[84:85], v[100:101], v[60:61]
	v_add_f64 v[86:87], v[102:103], v[62:63]
	v_mul_f64 v[100:101], v[94:95], v[80:81]
	v_mul_f64 v[102:103], v[70:71], v[54:55]
	;; [unrolled: 1-line block ×3, first 2 shown]
	s_mov_b32 s19, 0xbfefac9e
	s_mov_b32 s23, 0xbfc2375f
	;; [unrolled: 1-line block ×3, first 2 shown]
	v_add_f64 v[64:65], v[84:85], v[56:57]
	v_add_f64 v[66:67], v[86:87], v[58:59]
	v_fma_f64 v[82:83], v[92:93], v[82:83], -v[100:101]
	v_mul_f64 v[86:87], v[90:91], v[72:73]
	v_mul_f64 v[84:85], v[90:91], v[74:75]
	v_fma_f64 v[52:53], v[68:69], v[52:53], v[102:103]
	v_fma_f64 v[54:55], v[68:69], v[54:55], -v[70:71]
	v_fma_f64 v[68:69], v[92:93], v[80:81], v[78:79]
	v_add_f64 v[64:65], v[64:65], v[104:105]
	v_add_f64 v[66:67], v[66:67], v[76:77]
	v_add_f64 v[70:71], v[2:3], -v[82:83]
	v_fma_f64 v[74:75], v[88:89], v[74:75], -v[86:87]
	v_add_f64 v[2:3], v[2:3], v[82:83]
	s_mov_b32 s29, 0xbfe4f49e
	s_mov_b32 s35, 0xbfd207e7
	;; [unrolled: 1-line block ×3, first 2 shown]
	v_fma_f64 v[72:73], v[88:89], v[72:73], v[84:85]
	v_add_f64 v[64:65], v[64:65], v[52:53]
	v_add_f64 v[66:67], v[66:67], v[54:55]
	;; [unrolled: 1-line block ×3, first 2 shown]
	v_mul_f64 v[80:81], v[70:71], s[14:15]
	v_add_f64 v[0:1], v[0:1], -v[68:69]
	v_mul_f64 v[84:85], v[2:3], s[6:7]
	v_mul_f64 v[88:89], v[70:71], s[0:1]
	;; [unrolled: 1-line block ×9, first 2 shown]
	v_add_f64 v[180:181], v[96:97], -v[74:75]
	s_mov_b32 s39, 0x3fd207e7
	s_mov_b32 s38, s34
	v_add_f64 v[64:65], v[64:65], v[72:73]
	v_add_f64 v[66:67], v[66:67], v[74:75]
	v_fma_f64 v[86:87], v[78:79], s[6:7], v[80:81]
	v_add_f64 v[74:75], v[96:97], v[74:75]
	v_fma_f64 v[96:97], v[78:79], s[36:37], v[70:71]
	v_fma_f64 v[182:183], v[0:1], s[38:39], v[2:3]
	v_add_f64 v[184:185], v[98:99], v[72:73]
	v_add_f64 v[72:73], v[98:99], -v[72:73]
	v_mul_f64 v[98:99], v[180:181], s[0:1]
	s_mov_b32 s21, 0x3fe14ced
	s_mov_b32 s20, s14
	;; [unrolled: 1-line block ×7, first 2 shown]
	v_fma_f64 v[92:93], v[0:1], s[20:21], v[84:85]
	v_add_f64 v[64:65], v[64:65], v[68:69]
	v_add_f64 v[66:67], v[66:67], v[82:83]
	v_fma_f64 v[68:69], v[78:79], s[6:7], -v[80:81]
	v_add_f64 v[80:81], v[48:49], v[86:87]
	v_fma_f64 v[82:83], v[0:1], s[14:15], v[84:85]
	v_fma_f64 v[84:85], v[78:79], s[12:13], v[88:89]
	v_fma_f64 v[86:87], v[0:1], s[16:17], v[90:91]
	v_fma_f64 v[88:89], v[78:79], s[12:13], -v[88:89]
	v_fma_f64 v[90:91], v[0:1], s[0:1], v[90:91]
	v_fma_f64 v[100:101], v[78:79], s[22:23], v[94:95]
	v_fma_f64 v[174:175], v[0:1], s[24:25], v[102:103]
	v_fma_f64 v[94:95], v[78:79], s[22:23], -v[94:95]
	;; [unrolled: 4-line block ×3, first 2 shown]
	v_fma_f64 v[172:173], v[0:1], s[26:27], v[172:173]
	v_mul_f64 v[186:187], v[74:75], s[12:13]
	v_fma_f64 v[70:71], v[78:79], s[36:37], -v[70:71]
	v_fma_f64 v[0:1], v[0:1], s[34:35], v[2:3]
	v_add_f64 v[2:3], v[48:49], v[96:97]
	v_add_f64 v[78:79], v[50:51], v[182:183]
	v_mul_f64 v[96:97], v[180:181], s[26:27]
	v_mul_f64 v[182:183], v[74:75], s[28:29]
	v_fma_f64 v[188:189], v[184:185], s[12:13], v[98:99]
	v_add_f64 v[92:93], v[50:51], v[92:93]
	v_add_f64 v[68:69], v[48:49], v[68:69]
	;; [unrolled: 1-line block ×15, first 2 shown]
	v_fma_f64 v[190:191], v[72:73], s[16:17], v[186:187]
	v_add_f64 v[48:49], v[48:49], v[70:71]
	v_add_f64 v[0:1], v[50:51], v[0:1]
	v_fma_f64 v[50:51], v[184:185], s[12:13], -v[98:99]
	v_fma_f64 v[70:71], v[72:73], s[0:1], v[186:187]
	v_fma_f64 v[98:99], v[184:185], s[28:29], v[96:97]
	;; [unrolled: 1-line block ×3, first 2 shown]
	v_add_f64 v[80:81], v[188:189], v[80:81]
	v_mul_f64 v[188:189], v[180:181], s[38:39]
	v_add_f64 v[92:93], v[190:191], v[92:93]
	v_mul_f64 v[190:191], v[74:75], s[36:37]
	v_add_f64 v[50:51], v[50:51], v[68:69]
	v_add_f64 v[68:69], v[70:71], v[82:83]
	;; [unrolled: 1-line block ×4, first 2 shown]
	v_fma_f64 v[84:85], v[184:185], s[28:29], -v[96:97]
	v_fma_f64 v[86:87], v[72:73], s[26:27], v[182:183]
	v_fma_f64 v[96:97], v[184:185], s[36:37], v[188:189]
	v_mul_f64 v[182:183], v[180:181], s[24:25]
	v_fma_f64 v[98:99], v[72:73], s[34:35], v[190:191]
	v_mul_f64 v[186:187], v[74:75], s[22:23]
	;; [unrolled: 2-line block ×3, first 2 shown]
	v_add_f64 v[84:85], v[84:85], v[88:89]
	v_add_f64 v[86:87], v[86:87], v[90:91]
	v_add_f64 v[88:89], v[96:97], v[100:101]
	v_fma_f64 v[96:97], v[184:185], s[22:23], v[182:183]
	v_add_f64 v[90:91], v[98:99], v[174:175]
	v_fma_f64 v[174:175], v[72:73], s[24:25], v[186:187]
	v_fma_f64 v[98:99], v[72:73], s[18:19], v[186:187]
	v_add_f64 v[100:101], v[190:191], v[102:103]
	v_fma_f64 v[102:103], v[184:185], s[22:23], -v[182:183]
	v_mul_f64 v[180:181], v[180:181], s[20:21]
	v_fma_f64 v[188:189], v[184:185], s[36:37], -v[188:189]
	v_add_f64 v[96:97], v[96:97], v[176:177]
	v_add_f64 v[176:177], v[166:167], -v[54:55]
	v_add_f64 v[54:55], v[166:167], v[54:55]
	v_add_f64 v[166:167], v[174:175], v[172:173]
	v_fma_f64 v[172:173], v[72:73], s[14:15], v[74:75]
	v_add_f64 v[174:175], v[164:165], v[52:53]
	v_add_f64 v[52:53], v[164:165], -v[52:53]
	v_add_f64 v[98:99], v[98:99], v[178:179]
	v_add_f64 v[102:103], v[102:103], v[170:171]
	v_mul_f64 v[164:165], v[176:177], s[18:19]
	v_fma_f64 v[170:171], v[184:185], s[6:7], v[180:181]
	v_mul_f64 v[178:179], v[54:55], s[22:23]
	v_fma_f64 v[72:73], v[72:73], s[20:21], v[74:75]
	v_add_f64 v[74:75], v[172:173], v[78:79]
	v_mul_f64 v[78:79], v[176:177], s[38:39]
	v_fma_f64 v[180:181], v[184:185], s[6:7], -v[180:181]
	v_add_f64 v[94:95], v[188:189], v[94:95]
	v_fma_f64 v[172:173], v[174:175], s[22:23], v[164:165]
	v_add_f64 v[2:3], v[170:171], v[2:3]
	v_mul_f64 v[170:171], v[54:55], s[36:37]
	v_fma_f64 v[182:183], v[52:53], s[24:25], v[178:179]
	v_add_f64 v[0:1], v[72:73], v[0:1]
	v_fma_f64 v[72:73], v[174:175], s[22:23], -v[164:165]
	v_fma_f64 v[164:165], v[52:53], s[18:19], v[178:179]
	v_fma_f64 v[178:179], v[174:175], s[36:37], v[78:79]
	v_add_f64 v[80:81], v[172:173], v[80:81]
	v_mul_f64 v[172:173], v[176:177], s[16:17]
	v_add_f64 v[48:49], v[180:181], v[48:49]
	v_fma_f64 v[180:181], v[52:53], s[34:35], v[170:171]
	v_add_f64 v[92:93], v[182:183], v[92:93]
	v_mul_f64 v[182:183], v[54:55], s[12:13]
	v_add_f64 v[68:69], v[164:165], v[68:69]
	v_add_f64 v[70:71], v[178:179], v[70:71]
	v_fma_f64 v[78:79], v[174:175], s[36:37], -v[78:79]
	v_fma_f64 v[164:165], v[174:175], s[12:13], v[172:173]
	v_mul_f64 v[178:179], v[176:177], s[14:15]
	v_add_f64 v[50:51], v[72:73], v[50:51]
	v_add_f64 v[72:73], v[180:181], v[82:83]
	v_fma_f64 v[82:83], v[52:53], s[38:39], v[170:171]
	v_fma_f64 v[170:171], v[52:53], s[0:1], v[182:183]
	v_mul_f64 v[180:181], v[54:55], s[6:7]
	v_fma_f64 v[172:173], v[174:175], s[12:13], -v[172:173]
	v_add_f64 v[78:79], v[78:79], v[84:85]
	v_add_f64 v[84:85], v[164:165], v[88:89]
	v_fma_f64 v[88:89], v[174:175], s[6:7], v[178:179]
	v_mul_f64 v[164:165], v[176:177], s[26:27]
	v_add_f64 v[82:83], v[82:83], v[86:87]
	v_add_f64 v[86:87], v[170:171], v[90:91]
	v_fma_f64 v[90:91], v[52:53], s[20:21], v[180:181]
	v_add_f64 v[94:95], v[172:173], v[94:95]
	v_mul_f64 v[54:55], v[54:55], s[28:29]
	v_fma_f64 v[170:171], v[174:175], s[6:7], -v[178:179]
	v_fma_f64 v[172:173], v[52:53], s[14:15], v[180:181]
	v_add_f64 v[88:89], v[88:89], v[96:97]
	v_add_f64 v[96:97], v[168:169], -v[76:77]
	v_add_f64 v[76:77], v[168:169], v[76:77]
	v_add_f64 v[90:91], v[90:91], v[98:99]
	v_fma_f64 v[98:99], v[174:175], s[28:29], v[164:165]
	v_fma_f64 v[168:169], v[52:53], s[30:31], v[54:55]
	v_add_f64 v[102:103], v[170:171], v[102:103]
	v_add_f64 v[166:167], v[172:173], v[166:167]
	;; [unrolled: 1-line block ×3, first 2 shown]
	v_add_f64 v[104:105], v[106:107], -v[104:105]
	v_mul_f64 v[106:107], v[96:97], s[26:27]
	v_mul_f64 v[172:173], v[76:77], s[28:29]
	v_add_f64 v[2:3], v[98:99], v[2:3]
	v_add_f64 v[74:75], v[168:169], v[74:75]
	v_fma_f64 v[98:99], v[174:175], s[28:29], -v[164:165]
	v_fma_f64 v[182:183], v[52:53], s[16:17], v[182:183]
	v_fma_f64 v[52:53], v[52:53], s[26:27], v[54:55]
	v_mul_f64 v[54:55], v[96:97], s[24:25]
	v_fma_f64 v[168:169], v[170:171], s[28:29], v[106:107]
	v_fma_f64 v[174:175], v[104:105], s[30:31], v[172:173]
	v_fma_f64 v[106:107], v[170:171], s[28:29], -v[106:107]
	v_fma_f64 v[172:173], v[104:105], s[26:27], v[172:173]
	v_mul_f64 v[164:165], v[76:77], s[22:23]
	v_add_f64 v[100:101], v[182:183], v[100:101]
	v_add_f64 v[48:49], v[98:99], v[48:49]
	;; [unrolled: 1-line block ×4, first 2 shown]
	v_mul_f64 v[168:169], v[76:77], s[6:7]
	v_add_f64 v[50:51], v[106:107], v[50:51]
	v_add_f64 v[106:107], v[172:173], v[68:69]
	v_mul_f64 v[68:69], v[96:97], s[14:15]
	v_fma_f64 v[52:53], v[170:171], s[22:23], v[54:55]
	v_fma_f64 v[98:99], v[104:105], s[18:19], v[164:165]
	v_add_f64 v[92:93], v[174:175], v[92:93]
	v_fma_f64 v[54:55], v[170:171], s[22:23], -v[54:55]
	v_fma_f64 v[164:165], v[104:105], s[24:25], v[164:165]
	v_fma_f64 v[174:175], v[104:105], s[20:21], v[168:169]
	;; [unrolled: 1-line block ×4, first 2 shown]
	v_fma_f64 v[68:69], v[170:171], s[6:7], -v[68:69]
	v_add_f64 v[52:53], v[52:53], v[70:71]
	v_add_f64 v[98:99], v[98:99], v[72:73]
	v_mul_f64 v[70:71], v[96:97], s[34:35]
	v_mul_f64 v[72:73], v[76:77], s[36:37]
	v_add_f64 v[54:55], v[54:55], v[78:79]
	v_add_f64 v[78:79], v[164:165], v[82:83]
	;; [unrolled: 1-line block ×6, first 2 shown]
	v_add_f64 v[100:101], v[62:63], -v[58:59]
	v_add_f64 v[62:63], v[62:63], v[58:59]
	v_mul_f64 v[58:59], v[96:97], s[16:17]
	v_mul_f64 v[68:69], v[76:77], s[12:13]
	v_fma_f64 v[176:177], v[170:171], s[36:37], v[70:71]
	v_fma_f64 v[178:179], v[104:105], s[38:39], v[72:73]
	v_fma_f64 v[70:71], v[170:171], s[36:37], -v[70:71]
	v_fma_f64 v[72:73], v[104:105], s[34:35], v[72:73]
	v_add_f64 v[96:97], v[60:61], v[56:57]
	v_add_f64 v[164:165], v[60:61], -v[56:57]
	v_mul_f64 v[56:57], v[100:101], s[34:35]
	v_mul_f64 v[60:61], v[62:63], s[36:37]
	v_fma_f64 v[76:77], v[170:171], s[12:13], v[58:59]
	v_fma_f64 v[168:169], v[104:105], s[0:1], v[68:69]
	v_add_f64 v[102:103], v[70:71], v[102:103]
	v_add_f64 v[166:167], v[72:73], v[166:167]
	v_fma_f64 v[58:59], v[170:171], s[12:13], -v[58:59]
	v_fma_f64 v[68:69], v[104:105], s[16:17], v[68:69]
	v_fma_f64 v[70:71], v[96:97], s[36:37], v[56:57]
	;; [unrolled: 1-line block ×3, first 2 shown]
	v_add_f64 v[2:3], v[76:77], v[2:3]
	v_add_f64 v[104:105], v[168:169], v[74:75]
	v_mul_f64 v[74:75], v[100:101], s[20:21]
	v_mul_f64 v[76:77], v[62:63], s[6:7]
	v_add_f64 v[168:169], v[58:59], v[48:49]
	v_add_f64 v[0:1], v[68:69], v[0:1]
	;; [unrolled: 1-line block ×4, first 2 shown]
	v_fma_f64 v[48:49], v[96:97], s[36:37], -v[56:57]
	v_mul_f64 v[92:93], v[100:101], s[26:27]
	v_mul_f64 v[170:171], v[62:63], s[28:29]
	v_fma_f64 v[58:59], v[164:165], s[34:35], v[60:61]
	v_fma_f64 v[60:61], v[96:97], s[6:7], v[74:75]
	;; [unrolled: 1-line block ×3, first 2 shown]
	v_fma_f64 v[172:173], v[96:97], s[6:7], -v[74:75]
	v_fma_f64 v[76:77], v[164:165], s[20:21], v[76:77]
	v_add_f64 v[56:57], v[48:49], v[50:51]
	v_fma_f64 v[48:49], v[96:97], s[28:29], v[92:93]
	v_fma_f64 v[50:51], v[164:165], s[30:31], v[170:171]
	v_add_f64 v[88:89], v[176:177], v[88:89]
	v_add_f64 v[72:73], v[60:61], v[52:53]
	;; [unrolled: 1-line block ×3, first 2 shown]
	v_fma_f64 v[60:61], v[96:97], s[28:29], -v[92:93]
	v_fma_f64 v[80:81], v[164:165], s[26:27], v[170:171]
	v_mul_f64 v[92:93], v[100:101], s[16:17]
	v_mul_f64 v[98:99], v[62:63], s[12:13]
	v_add_f64 v[52:53], v[172:173], v[54:55]
	v_add_f64 v[54:55], v[76:77], v[78:79]
	;; [unrolled: 1-line block ×4, first 2 shown]
	v_mul_f64 v[48:49], v[100:101], s[18:19]
	v_mul_f64 v[50:51], v[62:63], s[22:23]
	v_add_f64 v[90:91], v[178:179], v[90:91]
	v_add_f64 v[62:63], v[80:81], v[94:95]
	v_fma_f64 v[80:81], v[96:97], s[12:13], v[92:93]
	v_fma_f64 v[82:83], v[164:165], s[0:1], v[98:99]
	v_add_f64 v[60:61], v[60:61], v[86:87]
	v_fma_f64 v[84:85], v[96:97], s[12:13], -v[92:93]
	v_fma_f64 v[86:87], v[164:165], s[16:17], v[98:99]
	v_fma_f64 v[92:93], v[96:97], s[22:23], v[48:49]
	;; [unrolled: 1-line block ×3, first 2 shown]
	v_fma_f64 v[96:97], v[96:97], s[22:23], -v[48:49]
	v_fma_f64 v[98:99], v[164:165], s[18:19], v[50:51]
	v_add_f64 v[80:81], v[80:81], v[88:89]
	v_add_f64 v[82:83], v[82:83], v[90:91]
	;; [unrolled: 1-line block ×9, first 2 shown]
	s_barrier
	ds_write_b128 v222, v[64:67]
	ds_write_b128 v222, v[68:71] offset:352
	ds_write_b128 v222, v[72:75] offset:704
	;; [unrolled: 1-line block ×10, first 2 shown]
	s_waitcnt lgkmcnt(0)
	s_barrier
	ds_read_b128 v[64:67], v213
	ds_read_b128 v[88:91], v213 offset:3872
	ds_read_b128 v[84:87], v213 offset:7744
	;; [unrolled: 1-line block ×6, first 2 shown]
	s_and_saveexec_b64 s[0:1], s[2:3]
	s_cbranch_execz .LBB0_15
; %bb.14:
	ds_read_b128 v[48:51], v213 offset:2464
	ds_read_b128 v[60:63], v213 offset:6336
	;; [unrolled: 1-line block ×7, first 2 shown]
.LBB0_15:
	s_or_b64 exec, exec, s[0:1]
	s_waitcnt lgkmcnt(5)
	v_mul_f64 v[0:1], v[134:135], v[90:91]
	s_waitcnt lgkmcnt(4)
	v_mul_f64 v[94:95], v[130:131], v[84:85]
	v_mul_f64 v[2:3], v[134:135], v[88:89]
	;; [unrolled: 1-line block ×3, first 2 shown]
	s_waitcnt lgkmcnt(0)
	v_mul_f64 v[96:97], v[146:147], v[82:83]
	v_mul_f64 v[98:99], v[138:139], v[76:77]
	v_mul_f64 v[100:101], v[118:119], v[70:71]
	v_mul_f64 v[102:103], v[118:119], v[68:69]
	v_fma_f64 v[0:1], v[132:133], v[88:89], v[0:1]
	v_fma_f64 v[86:87], v[128:129], v[86:87], -v[94:95]
	v_mul_f64 v[88:89], v[146:147], v[80:81]
	v_mul_f64 v[94:95], v[138:139], v[78:79]
	v_fma_f64 v[2:3], v[132:133], v[90:91], -v[2:3]
	v_fma_f64 v[84:85], v[128:129], v[84:85], v[92:93]
	v_mul_f64 v[90:91], v[126:127], v[74:75]
	v_mul_f64 v[92:93], v[126:127], v[72:73]
	v_fma_f64 v[80:81], v[144:145], v[80:81], v[96:97]
	v_fma_f64 v[78:79], v[136:137], v[78:79], -v[98:99]
	v_fma_f64 v[82:83], v[144:145], v[82:83], -v[88:89]
	v_fma_f64 v[76:77], v[136:137], v[76:77], v[94:95]
	v_fma_f64 v[68:69], v[116:117], v[68:69], v[100:101]
	v_fma_f64 v[70:71], v[116:117], v[70:71], -v[102:103]
	v_fma_f64 v[72:73], v[124:125], v[72:73], v[90:91]
	v_fma_f64 v[74:75], v[124:125], v[74:75], -v[92:93]
	v_add_f64 v[88:89], v[0:1], v[80:81]
	v_add_f64 v[0:1], v[0:1], -v[80:81]
	v_add_f64 v[90:91], v[2:3], v[82:83]
	v_add_f64 v[2:3], v[2:3], -v[82:83]
	v_add_f64 v[80:81], v[84:85], v[76:77]
	v_add_f64 v[82:83], v[86:87], v[78:79]
	v_add_f64 v[76:77], v[84:85], -v[76:77]
	v_add_f64 v[78:79], v[86:87], -v[78:79]
	v_add_f64 v[84:85], v[72:73], v[68:69]
	v_add_f64 v[86:87], v[74:75], v[70:71]
	v_add_f64 v[68:69], v[68:69], -v[72:73]
	;; [unrolled: 4-line block ×3, first 2 shown]
	v_add_f64 v[94:95], v[82:83], -v[90:91]
	v_add_f64 v[88:89], v[88:89], -v[84:85]
	;; [unrolled: 1-line block ×5, first 2 shown]
	v_add_f64 v[96:97], v[68:69], v[76:77]
	v_add_f64 v[98:99], v[70:71], v[78:79]
	v_add_f64 v[100:101], v[68:69], -v[76:77]
	v_add_f64 v[102:103], v[70:71], -v[78:79]
	v_add_f64 v[72:73], v[84:85], v[72:73]
	v_add_f64 v[74:75], v[86:87], v[74:75]
	v_add_f64 v[76:77], v[76:77], -v[0:1]
	v_add_f64 v[78:79], v[78:79], -v[2:3]
	s_mov_b32 s14, 0x37e14327
	s_mov_b32 s6, 0x36b3c0b5
	;; [unrolled: 1-line block ×7, first 2 shown]
	v_add_f64 v[68:69], v[0:1], -v[68:69]
	v_add_f64 v[70:71], v[2:3], -v[70:71]
	v_add_f64 v[0:1], v[96:97], v[0:1]
	v_add_f64 v[2:3], v[98:99], v[2:3]
	;; [unrolled: 1-line block ×4, first 2 shown]
	v_mul_f64 v[84:85], v[88:89], s[14:15]
	v_mul_f64 v[86:87], v[90:91], s[14:15]
	;; [unrolled: 1-line block ×6, first 2 shown]
	s_mov_b32 s1, 0xbfebfeb5
	v_mul_f64 v[100:101], v[76:77], s[0:1]
	v_mul_f64 v[102:103], v[78:79], s[0:1]
	s_mov_b32 s24, 0xaaaaaaaa
	s_mov_b32 s12, 0x5476071b
	;; [unrolled: 1-line block ×8, first 2 shown]
	v_fma_f64 v[72:73], v[72:73], s[24:25], v[64:65]
	v_fma_f64 v[74:75], v[74:75], s[24:25], v[66:67]
	;; [unrolled: 1-line block ×4, first 2 shown]
	v_fma_f64 v[88:89], v[92:93], s[12:13], -v[88:89]
	v_fma_f64 v[90:91], v[94:95], s[12:13], -v[90:91]
	;; [unrolled: 1-line block ×4, first 2 shown]
	v_fma_f64 v[92:93], v[68:69], s[26:27], v[96:97]
	v_fma_f64 v[94:95], v[70:71], s[26:27], v[98:99]
	s_mov_b32 s23, 0x3fd5d0dc
	s_mov_b32 s22, s26
	v_fma_f64 v[68:69], v[68:69], s[22:23], -v[100:101]
	v_fma_f64 v[70:71], v[70:71], s[22:23], -v[102:103]
	;; [unrolled: 1-line block ×4, first 2 shown]
	s_mov_b32 s20, 0x37c3f68c
	s_mov_b32 s21, 0xbfdc38aa
	v_add_f64 v[96:97], v[80:81], v[72:73]
	v_add_f64 v[98:99], v[82:83], v[74:75]
	;; [unrolled: 1-line block ×4, first 2 shown]
	v_fma_f64 v[88:89], v[2:3], s[20:21], v[94:95]
	v_fma_f64 v[90:91], v[0:1], s[20:21], v[92:93]
	v_add_f64 v[84:85], v[84:85], v[72:73]
	v_add_f64 v[86:87], v[86:87], v[74:75]
	v_fma_f64 v[92:93], v[2:3], s[20:21], v[70:71]
	v_fma_f64 v[94:95], v[0:1], s[20:21], v[68:69]
	;; [unrolled: 1-line block ×4, first 2 shown]
	v_add_f64 v[68:69], v[88:89], v[96:97]
	v_add_f64 v[70:71], v[98:99], -v[90:91]
	v_add_f64 v[88:89], v[96:97], -v[88:89]
	v_add_f64 v[90:91], v[90:91], v[98:99]
	v_add_f64 v[72:73], v[92:93], v[84:85]
	v_add_f64 v[74:75], v[86:87], -v[94:95]
	v_add_f64 v[76:77], v[80:81], -v[2:3]
	v_add_f64 v[78:79], v[0:1], v[82:83]
	;; [unrolled: 4-line block ×3, first 2 shown]
	ds_write_b128 v213, v[64:67]
	ds_write_b128 v213, v[68:71] offset:3872
	ds_write_b128 v213, v[72:75] offset:7744
	;; [unrolled: 1-line block ×6, first 2 shown]
	s_and_saveexec_b64 s[28:29], s[2:3]
	s_cbranch_execz .LBB0_17
; %bb.16:
	v_mul_f64 v[0:1], v[110:111], v[46:47]
	v_mul_f64 v[2:3], v[114:115], v[58:59]
	;; [unrolled: 1-line block ×8, first 2 shown]
	v_fma_f64 v[0:1], v[108:109], v[44:45], v[0:1]
	v_fma_f64 v[2:3], v[112:113], v[56:57], v[2:3]
	v_mul_f64 v[76:77], v[122:123], v[54:55]
	v_fma_f64 v[68:69], v[148:149], v[162:163], -v[68:69]
	v_fma_f64 v[62:63], v[140:141], v[62:63], -v[70:71]
	v_mul_f64 v[56:57], v[114:115], v[56:57]
	v_mul_f64 v[44:45], v[110:111], v[44:45]
	v_fma_f64 v[70:71], v[152:153], v[158:159], -v[72:73]
	v_fma_f64 v[54:55], v[120:121], v[54:55], -v[74:75]
	v_mul_f64 v[78:79], v[154:155], v[158:159]
	v_fma_f64 v[60:61], v[140:141], v[60:61], v[64:65]
	v_fma_f64 v[64:65], v[148:149], v[160:161], v[66:67]
	;; [unrolled: 1-line block ×3, first 2 shown]
	v_fma_f64 v[56:57], v[112:113], v[58:59], -v[56:57]
	v_fma_f64 v[44:45], v[108:109], v[46:47], -v[44:45]
	v_add_f64 v[58:59], v[62:63], v[68:69]
	v_add_f64 v[66:67], v[54:55], v[70:71]
	v_fma_f64 v[72:73], v[152:153], v[156:157], v[78:79]
	v_add_f64 v[46:47], v[0:1], -v[2:3]
	v_add_f64 v[80:81], v[60:61], -v[64:65]
	v_add_f64 v[60:61], v[60:61], v[64:65]
	v_add_f64 v[0:1], v[2:3], v[0:1]
	;; [unrolled: 1-line block ×3, first 2 shown]
	v_add_f64 v[56:57], v[44:45], -v[56:57]
	v_add_f64 v[78:79], v[66:67], v[58:59]
	v_add_f64 v[74:75], v[52:53], -v[72:73]
	v_add_f64 v[52:53], v[52:53], v[72:73]
	v_add_f64 v[54:55], v[54:55], -v[70:71]
	v_add_f64 v[62:63], v[62:63], -v[68:69]
	;; [unrolled: 1-line block ×5, first 2 shown]
	v_add_f64 v[72:73], v[76:77], v[78:79]
	v_add_f64 v[82:83], v[46:47], -v[74:75]
	v_add_f64 v[78:79], v[80:81], -v[46:47]
	v_add_f64 v[84:85], v[46:47], v[74:75]
	v_add_f64 v[86:87], v[52:53], v[60:61]
	v_add_f64 v[70:71], v[74:75], -v[80:81]
	v_mul_f64 v[2:3], v[64:65], s[14:15]
	v_add_f64 v[64:65], v[76:77], -v[66:67]
	v_add_f64 v[46:47], v[50:51], v[72:73]
	v_mul_f64 v[82:83], v[82:83], s[16:17]
	v_add_f64 v[88:89], v[54:55], -v[62:63]
	v_add_f64 v[76:77], v[84:85], v[80:81]
	v_add_f64 v[50:51], v[0:1], v[86:87]
	v_add_f64 v[80:81], v[56:57], -v[54:55]
	v_add_f64 v[0:1], v[0:1], -v[52:53]
	v_fma_f64 v[86:87], v[64:65], s[6:7], v[2:3]
	v_fma_f64 v[72:73], v[72:73], s[24:25], v[46:47]
	;; [unrolled: 1-line block ×3, first 2 shown]
	v_mul_f64 v[64:65], v[64:65], s[6:7]
	v_mul_f64 v[66:67], v[68:69], s[14:15]
	v_add_f64 v[44:45], v[48:49], v[50:51]
	v_mul_f64 v[68:69], v[70:71], s[0:1]
	v_mul_f64 v[80:81], v[80:81], s[16:17]
	v_add_f64 v[54:55], v[56:57], v[54:55]
	v_add_f64 v[74:75], v[86:87], v[72:73]
	v_add_f64 v[86:87], v[62:63], -v[56:57]
	v_add_f64 v[52:53], v[52:53], -v[60:61]
	v_mul_f64 v[60:61], v[88:89], s[0:1]
	v_mul_f64 v[56:57], v[0:1], s[6:7]
	v_fma_f64 v[48:49], v[76:77], s[20:21], v[84:85]
	v_fma_f64 v[84:85], v[50:51], s[24:25], v[44:45]
	;; [unrolled: 1-line block ×3, first 2 shown]
	v_fma_f64 v[68:69], v[78:79], s[22:23], -v[68:69]
	v_fma_f64 v[2:3], v[58:59], s[18:19], -v[2:3]
	v_fma_f64 v[78:79], v[86:87], s[26:27], v[80:81]
	v_add_f64 v[54:55], v[54:55], v[62:63]
	v_fma_f64 v[58:59], v[58:59], s[12:13], -v[64:65]
	v_fma_f64 v[62:63], v[70:71], s[0:1], -v[82:83]
	;; [unrolled: 1-line block ×6, first 2 shown]
	v_fma_f64 v[64:65], v[76:77], s[20:21], v[68:69]
	v_add_f64 v[2:3], v[2:3], v[72:73]
	v_add_f64 v[68:69], v[58:59], v[72:73]
	v_fma_f64 v[62:63], v[76:77], s[20:21], v[62:63]
	v_add_f64 v[0:1], v[0:1], v[84:85]
	v_fma_f64 v[72:73], v[54:55], s[20:21], v[78:79]
	;; [unrolled: 2-line block ×4, first 2 shown]
	v_add_f64 v[70:71], v[74:75], -v[48:49]
	v_add_f64 v[58:59], v[68:69], -v[62:63]
	v_add_f64 v[62:63], v[62:63], v[68:69]
	v_add_f64 v[68:69], v[72:73], v[0:1]
	;; [unrolled: 1-line block ×3, first 2 shown]
	v_add_f64 v[66:67], v[2:3], -v[64:65]
	v_add_f64 v[64:65], v[78:79], v[76:77]
	v_add_f64 v[60:61], v[52:53], -v[56:57]
	v_add_f64 v[56:57], v[56:57], v[52:53]
	;; [unrolled: 2-line block ×3, first 2 shown]
	v_add_f64 v[48:49], v[0:1], -v[72:73]
	ds_write_b128 v213, v[44:47] offset:2464
	ds_write_b128 v213, v[68:71] offset:6336
	;; [unrolled: 1-line block ×7, first 2 shown]
.LBB0_17:
	s_or_b64 exec, exec, s[28:29]
	s_waitcnt lgkmcnt(0)
	s_barrier
	ds_read_b128 v[44:47], v213
	buffer_load_dword v0, off, s[44:47], 0  ; 4-byte Folded Reload
	buffer_load_dword v1, off, s[44:47], 0 offset:4 ; 4-byte Folded Reload
	ds_read_b128 v[48:51], v213 offset:2464
	s_mul_i32 s2, s9, 0x9a0
	s_mul_hi_u32 s3, s8, 0x9a0
	s_waitcnt lgkmcnt(1)
	v_mul_f64 v[2:3], v[34:35], v[46:47]
	v_mul_f64 v[34:35], v[34:35], v[44:45]
	s_add_i32 s2, s3, s2
	s_mul_i32 s3, s8, 0x9a0
	v_fma_f64 v[34:35], v[32:33], v[46:47], -v[34:35]
	s_waitcnt vmcnt(1)
	v_mov_b32_e32 v52, v0
	s_waitcnt vmcnt(0)
	v_mad_u64_u32 v[0:1], s[0:1], s10, v52, 0
	v_mad_u64_u32 v[52:53], s[0:1], s11, v52, v[1:2]
	;; [unrolled: 1-line block ×3, first 2 shown]
	v_fma_f64 v[2:3], v[32:33], v[44:45], v[2:3]
	v_mov_b32_e32 v1, v52
	v_mov_b32_e32 v32, v54
	v_mad_u64_u32 v[44:45], s[0:1], s9, v214, v[32:33]
	v_lshlrev_b64 v[0:1], 4, v[0:1]
	s_mov_b32 s0, 0xe9078e5b
	v_mov_b32_e32 v54, v44
	v_mov_b32_e32 v44, s5
	v_add_co_u32_e32 v45, vcc, s4, v0
	v_addc_co_u32_e32 v44, vcc, v44, v1, vcc
	v_lshlrev_b64 v[0:1], 4, v[53:54]
	s_mov_b32 s1, 0x3f4357f3
	v_add_co_u32_e32 v0, vcc, v45, v0
	v_mul_f64 v[32:33], v[2:3], s[0:1]
	v_addc_co_u32_e32 v1, vcc, v44, v1, vcc
	ds_read_b128 v[44:47], v213 offset:7392
	s_waitcnt lgkmcnt(1)
	v_mul_f64 v[2:3], v[22:23], v[50:51]
	v_mul_f64 v[22:23], v[22:23], v[48:49]
	;; [unrolled: 1-line block ×3, first 2 shown]
	v_fma_f64 v[2:3], v[20:21], v[48:49], v[2:3]
	v_fma_f64 v[48:49], v[20:21], v[50:51], -v[22:23]
	ds_read_b128 v[20:23], v213 offset:4928
	global_store_dwordx4 v[0:1], v[32:35], off
	v_mov_b32_e32 v50, s2
	v_add_co_u32_e32 v0, vcc, s3, v0
	v_addc_co_u32_e32 v1, vcc, v1, v50, vcc
	v_mul_f64 v[32:33], v[2:3], s[0:1]
	s_waitcnt lgkmcnt(0)
	v_mul_f64 v[2:3], v[26:27], v[22:23]
	v_mul_f64 v[26:27], v[26:27], v[20:21]
	v_mul_f64 v[34:35], v[48:49], s[0:1]
	v_mul_f64 v[48:49], v[6:7], v[46:47]
	v_mul_f64 v[6:7], v[6:7], v[44:45]
	v_fma_f64 v[2:3], v[24:25], v[20:21], v[2:3]
	v_fma_f64 v[22:23], v[24:25], v[22:23], -v[26:27]
	global_store_dwordx4 v[0:1], v[32:35], off
	ds_read_b128 v[24:27], v213 offset:9856
	v_fma_f64 v[32:33], v[4:5], v[46:47], -v[6:7]
	v_add_co_u32_e32 v0, vcc, s3, v0
	v_addc_co_u32_e32 v1, vcc, v1, v50, vcc
	v_mul_f64 v[20:21], v[2:3], s[0:1]
	v_mul_f64 v[22:23], v[22:23], s[0:1]
	v_fma_f64 v[2:3], v[4:5], v[44:45], v[48:49]
	ds_read_b128 v[4:7], v213 offset:12320
	s_waitcnt lgkmcnt(1)
	v_mul_f64 v[34:35], v[10:11], v[26:27]
	v_mul_f64 v[10:11], v[10:11], v[24:25]
	global_store_dwordx4 v[0:1], v[20:23], off
	s_nop 0
	v_mul_f64 v[20:21], v[2:3], s[0:1]
	v_mul_f64 v[22:23], v[32:33], s[0:1]
	v_fma_f64 v[2:3], v[8:9], v[24:25], v[34:35]
	v_fma_f64 v[10:11], v[8:9], v[26:27], -v[10:11]
	s_waitcnt lgkmcnt(0)
	v_mul_f64 v[24:25], v[38:39], v[6:7]
	v_mul_f64 v[26:27], v[38:39], v[4:5]
	v_mov_b32_e32 v32, s2
	v_add_co_u32_e32 v0, vcc, s3, v0
	v_addc_co_u32_e32 v1, vcc, v1, v32, vcc
	global_store_dwordx4 v[0:1], v[20:23], off
	ds_read_b128 v[20:23], v213 offset:14784
	v_mul_f64 v[8:9], v[2:3], s[0:1]
	v_mul_f64 v[10:11], v[10:11], s[0:1]
	v_fma_f64 v[2:3], v[36:37], v[4:5], v[24:25]
	v_fma_f64 v[24:25], v[36:37], v[6:7], -v[26:27]
	ds_read_b128 v[4:7], v213 offset:17248
	s_waitcnt lgkmcnt(1)
	v_mul_f64 v[26:27], v[14:15], v[22:23]
	v_mul_f64 v[14:15], v[14:15], v[20:21]
	v_add_co_u32_e32 v0, vcc, s3, v0
	v_addc_co_u32_e32 v1, vcc, v1, v32, vcc
	global_store_dwordx4 v[0:1], v[8:11], off
	v_add_co_u32_e32 v0, vcc, s3, v0
	v_mul_f64 v[8:9], v[2:3], s[0:1]
	v_mul_f64 v[10:11], v[24:25], s[0:1]
	v_fma_f64 v[2:3], v[12:13], v[20:21], v[26:27]
	v_fma_f64 v[12:13], v[12:13], v[22:23], -v[14:15]
	s_waitcnt lgkmcnt(0)
	v_mul_f64 v[20:21], v[42:43], v[6:7]
	v_mul_f64 v[22:23], v[42:43], v[4:5]
	v_mov_b32_e32 v24, s2
	v_addc_co_u32_e32 v1, vcc, v1, v24, vcc
	global_store_dwordx4 v[0:1], v[8:11], off
	v_add_co_u32_e32 v0, vcc, s3, v0
	v_mul_f64 v[10:11], v[12:13], s[0:1]
	ds_read_b128 v[12:15], v213 offset:19712
	v_mul_f64 v[8:9], v[2:3], s[0:1]
	v_fma_f64 v[2:3], v[40:41], v[4:5], v[20:21]
	v_fma_f64 v[20:21], v[40:41], v[6:7], -v[22:23]
	ds_read_b128 v[4:7], v213 offset:22176
	s_waitcnt lgkmcnt(1)
	v_mul_f64 v[22:23], v[18:19], v[14:15]
	v_mul_f64 v[18:19], v[18:19], v[12:13]
	v_addc_co_u32_e32 v1, vcc, v1, v24, vcc
	global_store_dwordx4 v[0:1], v[8:11], off
	v_add_co_u32_e32 v0, vcc, s3, v0
	v_mul_f64 v[8:9], v[2:3], s[0:1]
	v_fma_f64 v[2:3], v[16:17], v[12:13], v[22:23]
	v_fma_f64 v[16:17], v[16:17], v[14:15], -v[18:19]
	ds_read_b128 v[12:15], v213 offset:24640
	buffer_load_dword v32, off, s[44:47], 0 offset:8 ; 4-byte Folded Reload
	buffer_load_dword v33, off, s[44:47], 0 offset:12 ; 4-byte Folded Reload
	;; [unrolled: 1-line block ×4, first 2 shown]
	v_mul_f64 v[10:11], v[20:21], s[0:1]
	v_mov_b32_e32 v20, s2
	v_addc_co_u32_e32 v1, vcc, v1, v20, vcc
	s_waitcnt lgkmcnt(0)
	v_mul_f64 v[22:23], v[30:31], v[14:15]
	v_mul_f64 v[24:25], v[30:31], v[12:13]
	global_store_dwordx4 v[0:1], v[8:11], off
	s_nop 0
	v_mul_f64 v[8:9], v[2:3], s[0:1]
	v_mul_f64 v[10:11], v[16:17], s[0:1]
	v_mov_b32_e32 v16, s2
	s_waitcnt vmcnt(1)
	v_mul_f64 v[18:19], v[34:35], v[6:7]
	v_mul_f64 v[20:21], v[34:35], v[4:5]
	v_fma_f64 v[2:3], v[32:33], v[4:5], v[18:19]
	v_fma_f64 v[4:5], v[32:33], v[6:7], -v[20:21]
	v_fma_f64 v[6:7], v[28:29], v[12:13], v[22:23]
	v_fma_f64 v[12:13], v[28:29], v[14:15], -v[24:25]
	v_add_co_u32_e32 v14, vcc, s3, v0
	v_addc_co_u32_e32 v15, vcc, v1, v16, vcc
	v_mul_f64 v[0:1], v[2:3], s[0:1]
	v_mul_f64 v[2:3], v[4:5], s[0:1]
	;; [unrolled: 1-line block ×4, first 2 shown]
	global_store_dwordx4 v[14:15], v[8:11], off
	s_nop 0
	v_mov_b32_e32 v9, s2
	v_add_co_u32_e32 v8, vcc, s3, v14
	v_addc_co_u32_e32 v9, vcc, v15, v9, vcc
	global_store_dwordx4 v[8:9], v[0:3], off
	s_nop 0
	v_mov_b32_e32 v1, s2
	v_add_co_u32_e32 v0, vcc, s3, v8
	v_addc_co_u32_e32 v1, vcc, v9, v1, vcc
	global_store_dwordx4 v[0:1], v[4:7], off
.LBB0_18:
	s_endpgm
	.section	.rodata,"a",@progbits
	.p2align	6, 0x0
	.amdhsa_kernel bluestein_single_back_len1694_dim1_dp_op_CI_CI
		.amdhsa_group_segment_fixed_size 27104
		.amdhsa_private_segment_fixed_size 48
		.amdhsa_kernarg_size 104
		.amdhsa_user_sgpr_count 6
		.amdhsa_user_sgpr_private_segment_buffer 1
		.amdhsa_user_sgpr_dispatch_ptr 0
		.amdhsa_user_sgpr_queue_ptr 0
		.amdhsa_user_sgpr_kernarg_segment_ptr 1
		.amdhsa_user_sgpr_dispatch_id 0
		.amdhsa_user_sgpr_flat_scratch_init 0
		.amdhsa_user_sgpr_private_segment_size 0
		.amdhsa_uses_dynamic_stack 0
		.amdhsa_system_sgpr_private_segment_wavefront_offset 1
		.amdhsa_system_sgpr_workgroup_id_x 1
		.amdhsa_system_sgpr_workgroup_id_y 0
		.amdhsa_system_sgpr_workgroup_id_z 0
		.amdhsa_system_sgpr_workgroup_info 0
		.amdhsa_system_vgpr_workitem_id 0
		.amdhsa_next_free_vgpr 256
		.amdhsa_next_free_sgpr 48
		.amdhsa_reserve_vcc 1
		.amdhsa_reserve_flat_scratch 0
		.amdhsa_float_round_mode_32 0
		.amdhsa_float_round_mode_16_64 0
		.amdhsa_float_denorm_mode_32 3
		.amdhsa_float_denorm_mode_16_64 3
		.amdhsa_dx10_clamp 1
		.amdhsa_ieee_mode 1
		.amdhsa_fp16_overflow 0
		.amdhsa_exception_fp_ieee_invalid_op 0
		.amdhsa_exception_fp_denorm_src 0
		.amdhsa_exception_fp_ieee_div_zero 0
		.amdhsa_exception_fp_ieee_overflow 0
		.amdhsa_exception_fp_ieee_underflow 0
		.amdhsa_exception_fp_ieee_inexact 0
		.amdhsa_exception_int_div_zero 0
	.end_amdhsa_kernel
	.text
.Lfunc_end0:
	.size	bluestein_single_back_len1694_dim1_dp_op_CI_CI, .Lfunc_end0-bluestein_single_back_len1694_dim1_dp_op_CI_CI
                                        ; -- End function
	.section	.AMDGPU.csdata,"",@progbits
; Kernel info:
; codeLenInByte = 20800
; NumSgprs: 52
; NumVgprs: 256
; ScratchSize: 48
; MemoryBound: 0
; FloatMode: 240
; IeeeMode: 1
; LDSByteSize: 27104 bytes/workgroup (compile time only)
; SGPRBlocks: 6
; VGPRBlocks: 63
; NumSGPRsForWavesPerEU: 52
; NumVGPRsForWavesPerEU: 256
; Occupancy: 1
; WaveLimiterHint : 1
; COMPUTE_PGM_RSRC2:SCRATCH_EN: 1
; COMPUTE_PGM_RSRC2:USER_SGPR: 6
; COMPUTE_PGM_RSRC2:TRAP_HANDLER: 0
; COMPUTE_PGM_RSRC2:TGID_X_EN: 1
; COMPUTE_PGM_RSRC2:TGID_Y_EN: 0
; COMPUTE_PGM_RSRC2:TGID_Z_EN: 0
; COMPUTE_PGM_RSRC2:TIDIG_COMP_CNT: 0
	.type	__hip_cuid_c91ce3816715dbd8,@object ; @__hip_cuid_c91ce3816715dbd8
	.section	.bss,"aw",@nobits
	.globl	__hip_cuid_c91ce3816715dbd8
__hip_cuid_c91ce3816715dbd8:
	.byte	0                               ; 0x0
	.size	__hip_cuid_c91ce3816715dbd8, 1

	.ident	"AMD clang version 19.0.0git (https://github.com/RadeonOpenCompute/llvm-project roc-6.4.0 25133 c7fe45cf4b819c5991fe208aaa96edf142730f1d)"
	.section	".note.GNU-stack","",@progbits
	.addrsig
	.addrsig_sym __hip_cuid_c91ce3816715dbd8
	.amdgpu_metadata
---
amdhsa.kernels:
  - .args:
      - .actual_access:  read_only
        .address_space:  global
        .offset:         0
        .size:           8
        .value_kind:     global_buffer
      - .actual_access:  read_only
        .address_space:  global
        .offset:         8
        .size:           8
        .value_kind:     global_buffer
      - .actual_access:  read_only
        .address_space:  global
        .offset:         16
        .size:           8
        .value_kind:     global_buffer
      - .actual_access:  read_only
        .address_space:  global
        .offset:         24
        .size:           8
        .value_kind:     global_buffer
      - .actual_access:  read_only
        .address_space:  global
        .offset:         32
        .size:           8
        .value_kind:     global_buffer
      - .offset:         40
        .size:           8
        .value_kind:     by_value
      - .address_space:  global
        .offset:         48
        .size:           8
        .value_kind:     global_buffer
      - .address_space:  global
        .offset:         56
        .size:           8
        .value_kind:     global_buffer
      - .address_space:  global
        .offset:         64
        .size:           8
        .value_kind:     global_buffer
      - .address_space:  global
        .offset:         72
        .size:           8
        .value_kind:     global_buffer
      - .offset:         80
        .size:           4
        .value_kind:     by_value
      - .address_space:  global
        .offset:         88
        .size:           8
        .value_kind:     global_buffer
      - .address_space:  global
        .offset:         96
        .size:           8
        .value_kind:     global_buffer
    .group_segment_fixed_size: 27104
    .kernarg_segment_align: 8
    .kernarg_segment_size: 104
    .language:       OpenCL C
    .language_version:
      - 2
      - 0
    .max_flat_workgroup_size: 154
    .name:           bluestein_single_back_len1694_dim1_dp_op_CI_CI
    .private_segment_fixed_size: 48
    .sgpr_count:     52
    .sgpr_spill_count: 0
    .symbol:         bluestein_single_back_len1694_dim1_dp_op_CI_CI.kd
    .uniform_work_group_size: 1
    .uses_dynamic_stack: false
    .vgpr_count:     256
    .vgpr_spill_count: 11
    .wavefront_size: 64
amdhsa.target:   amdgcn-amd-amdhsa--gfx906
amdhsa.version:
  - 1
  - 2
...

	.end_amdgpu_metadata
